;; amdgpu-corpus repo=zjin-lcf/HeCBench kind=compiled arch=gfx1250 opt=O3
	.amdgcn_target "amdgcn-amd-amdhsa--gfx1250"
	.amdhsa_code_object_version 6
	.text
	.p2align	2                               ; -- Begin function _Z13ht_get_atomicP6loc_ht9cstr_typej
	.type	_Z13ht_get_atomicP6loc_ht9cstr_typej,@function
_Z13ht_get_atomicP6loc_ht9cstr_typej:   ; @_Z13ht_get_atomicP6loc_ht9cstr_typej
; %bb.0:
	s_wait_loadcnt_dscnt 0x0
	s_wait_kmcnt 0x0
	v_dual_mov_b32 v6, v5 :: v_dual_bitop2_b32 v7, 3, v2 bitop3:0x40
	v_cmp_gt_i32_e64 s1, 4, v4
	v_xor_b32_e32 v5, 0x3fb0bb5f, v4
	v_cmp_lt_i32_e32 vcc_lo, 3, v4
	s_delay_alu instid0(VALU_DEP_4) | instskip(SKIP_1) | instid1(SALU_CYCLE_1)
	v_cmp_eq_u32_e64 s0, 0, v7
	s_or_b32 s0, s0, s1
	s_and_saveexec_b32 s1, s0
	s_delay_alu instid0(SALU_CYCLE_1)
	s_xor_b32 s0, exec_lo, s1
	s_cbranch_execz .LBB0_10
; %bb.1:
	v_mov_b64_e32 v[8:9], v[2:3]
	v_mov_b32_e32 v7, v4
	s_and_saveexec_b32 s1, vcc_lo
	s_cbranch_execz .LBB0_5
; %bb.2:
	v_mov_b64_e32 v[8:9], v[2:3]
	v_mov_b32_e32 v7, v4
	s_mov_b32 s2, 0
.LBB0_3:                                ; =>This Inner Loop Header: Depth=1
	flat_load_b32 v10, v[8:9]
	v_cmp_gt_u32_e32 vcc_lo, 8, v7
	v_mul_lo_u32 v5, 0x5bd1e995, v5
	s_wait_xcnt 0x0
	v_add_nc_u64_e32 v[8:9], 4, v[8:9]
	v_add_nc_u32_e32 v7, -4, v7
	s_or_b32 s2, vcc_lo, s2
	s_wait_loadcnt_dscnt 0x0
	v_mul_lo_u32 v10, 0x5bd1e995, v10
	s_delay_alu instid0(VALU_DEP_1) | instskip(NEXT) | instid1(VALU_DEP_1)
	v_lshrrev_b32_e32 v11, 24, v10
	v_xor_b32_e32 v10, v11, v10
	s_delay_alu instid0(VALU_DEP_1) | instskip(NEXT) | instid1(VALU_DEP_1)
	v_mul_lo_u32 v10, 0x5bd1e995, v10
	v_xor_b32_e32 v5, v10, v5
	s_and_not1_b32 exec_lo, exec_lo, s2
	s_cbranch_execnz .LBB0_3
; %bb.4:
	s_or_b32 exec_lo, exec_lo, s2
.LBB0_5:
	s_delay_alu instid0(SALU_CYCLE_1)
	s_or_b32 exec_lo, exec_lo, s1
	s_mov_b32 s1, 0
	s_mov_b32 s2, exec_lo
                                        ; implicit-def: $vgpr10
	v_cmpx_lt_i32_e32 1, v7
	s_xor_b32 s2, exec_lo, s2
	s_cbranch_execnz .LBB0_462
; %bb.6:
	s_and_not1_saveexec_b32 s2, s2
	s_cbranch_execnz .LBB0_465
.LBB0_7:
	s_or_b32 exec_lo, exec_lo, s2
	s_and_saveexec_b32 s2, s1
	s_cbranch_execz .LBB0_9
.LBB0_8:
	flat_load_u8 v5, v[8:9]
	s_wait_loadcnt_dscnt 0x0
	v_xor_b32_e32 v5, v10, v5
	s_delay_alu instid0(VALU_DEP_1)
	v_mul_lo_u32 v5, 0x5bd1e995, v5
.LBB0_9:
	s_wait_xcnt 0x0
	s_or_b32 exec_lo, exec_lo, s2
                                        ; implicit-def: $vgpr7
.LBB0_10:
	s_and_not1_saveexec_b32 s0, s0
	s_cbranch_execz .LBB0_36
; %bb.11:
	v_mov_b32_e32 v8, 0
	s_mov_b32 s1, exec_lo
	v_cmpx_gt_i32_e32 3, v7
	s_cbranch_execz .LBB0_15
; %bb.12:
	v_mov_b32_e32 v8, 0
	s_mov_b32 s2, exec_lo
	v_cmpx_ne_u32_e32 2, v7
	s_cbranch_execz .LBB0_14
; %bb.13:
	flat_load_u8 v8, v[2:3] offset:2
	s_wait_loadcnt_dscnt 0x0
	v_lshlrev_b32_e32 v8, 16, v8
.LBB0_14:
	s_wait_xcnt 0x0
	s_or_b32 exec_lo, exec_lo, s2
	flat_load_u8 v9, v[2:3] offset:1
	s_wait_loadcnt_dscnt 0x0
	v_lshl_or_b32 v8, v9, 8, v8
.LBB0_15:
	s_wait_xcnt 0x0
	s_or_b32 exec_lo, exec_lo, s1
	flat_load_u8 v9, v[2:3]
	v_dual_mov_b32 v15, 0 :: v_dual_sub_nc_u32 v14, 4, v7
	v_lshlrev_b32_e32 v10, 3, v7
	s_mov_b32 s1, exec_lo
	s_delay_alu instid0(VALU_DEP_2) | instskip(SKIP_3) | instid1(VALU_DEP_2)
	v_dual_sub_nc_u32 v12, v4, v14 :: v_dual_lshlrev_b32 v11, 3, v14
	s_wait_loadcnt_dscnt 0x0
	v_or_b32_e32 v13, v8, v9
	v_add_nc_u64_e32 v[8:9], v[2:3], v[14:15]
	v_lshlrev_b32_e32 v13, v10, v13
	s_wait_xcnt 0x0
	v_cmpx_lt_u32_e32 3, v12
	s_cbranch_execz .LBB0_19
; %bb.16:
	v_add_nc_u32_e32 v12, v4, v7
	s_mov_b32 s2, 0
.LBB0_17:                               ; =>This Inner Loop Header: Depth=1
	flat_load_b32 v14, v[8:9]
	v_lshrrev_b32_e32 v13, v10, v13
	v_mul_lo_u32 v5, 0x5bd1e995, v5
	s_wait_xcnt 0x0
	v_add_nc_u64_e32 v[8:9], 4, v[8:9]
	s_wait_loadcnt_dscnt 0x0
	v_lshl_or_b32 v13, v14, v11, v13
	s_delay_alu instid0(VALU_DEP_1) | instskip(NEXT) | instid1(VALU_DEP_1)
	v_mul_lo_u32 v13, 0x5bd1e995, v13
	v_lshrrev_b32_e32 v15, 24, v13
	s_delay_alu instid0(VALU_DEP_1) | instskip(NEXT) | instid1(VALU_DEP_1)
	v_dual_mov_b32 v15, v12 :: v_dual_bitop2_b32 v13, v15, v13 bitop3:0x14
	v_add_nc_u32_e32 v12, -4, v15
	s_delay_alu instid0(VALU_DEP_2) | instskip(SKIP_1) | instid1(VALU_DEP_3)
	v_mul_lo_u32 v16, 0x5bd1e995, v13
	v_mov_b32_e32 v13, v14
	v_cmp_gt_u32_e32 vcc_lo, 8, v12
	s_or_b32 s2, vcc_lo, s2
	s_delay_alu instid0(VALU_DEP_3)
	v_xor_b32_e32 v5, v16, v5
	s_and_not1_b32 exec_lo, exec_lo, s2
	s_cbranch_execnz .LBB0_17
; %bb.18:
	s_or_b32 exec_lo, exec_lo, s2
	v_dual_mov_b32 v13, v14 :: v_dual_add_nc_u32 v12, -8, v15
.LBB0_19:
	s_or_b32 exec_lo, exec_lo, s1
	s_delay_alu instid0(SALU_CYCLE_1) | instskip(NEXT) | instid1(VALU_DEP_1)
	s_mov_b32 s1, exec_lo
	v_cmpx_ge_u32_e64 v12, v7
	s_xor_b32 s1, exec_lo, s1
	s_cbranch_execz .LBB0_29
; %bb.20:
	s_mov_b32 s2, 0
	s_mov_b32 s3, exec_lo
                                        ; implicit-def: $vgpr14
	v_cmpx_lt_i32_e32 2, v7
	s_xor_b32 s3, exec_lo, s3
	s_cbranch_execnz .LBB0_466
; %bb.21:
	s_and_not1_saveexec_b32 s3, s3
	s_cbranch_execnz .LBB0_467
.LBB0_22:
	s_or_b32 exec_lo, exec_lo, s3
	v_mov_b32_e32 v15, 0
	s_and_saveexec_b32 s3, s2
	s_cbranch_execz .LBB0_24
.LBB0_23:
	flat_load_u8 v15, v[8:9] offset:1
	s_wait_loadcnt_dscnt 0x0
	v_lshl_or_b32 v15, v15, 8, v14
.LBB0_24:
	s_wait_xcnt 0x0
	s_or_b32 exec_lo, exec_lo, s3
	flat_load_u8 v14, v[8:9]
	v_lshrrev_b32_e32 v10, v10, v13
	v_mul_lo_u32 v5, 0x5bd1e995, v5
	s_mov_b32 s2, 0
	s_mov_b32 s3, exec_lo
	s_wait_loadcnt_dscnt 0x0
	v_or_b32_e32 v13, v15, v14
	v_dual_mov_b32 v15, 0 :: v_dual_bitop2_b32 v14, 3, v2 bitop3:0x40
	s_delay_alu instid0(VALU_DEP_2) | instskip(NEXT) | instid1(VALU_DEP_1)
	v_lshl_or_b32 v10, v13, v11, v10
	v_mul_lo_u32 v10, 0x5bd1e995, v10
	s_delay_alu instid0(VALU_DEP_1) | instskip(NEXT) | instid1(VALU_DEP_1)
	v_lshrrev_b32_e32 v11, 24, v10
	v_xor_b32_e32 v10, v11, v10
	s_delay_alu instid0(VALU_DEP_1) | instskip(SKIP_3) | instid1(VALU_DEP_3)
	v_mul_lo_u32 v11, 0x5bd1e995, v10
	v_sub_nc_u32_e32 v10, v12, v7
	s_wait_xcnt 0x0
	v_add_nc_u64_e32 v[8:9], v[8:9], v[14:15]
                                        ; implicit-def: $vgpr7
	v_xor_b32_e32 v5, v11, v5
	s_delay_alu instid0(VALU_DEP_3)
	v_cmpx_lt_i32_e32 1, v10
	s_xor_b32 s3, exec_lo, s3
	s_cbranch_execnz .LBB0_468
; %bb.25:
	s_and_not1_saveexec_b32 s3, s3
	s_cbranch_execnz .LBB0_469
.LBB0_26:
	s_or_b32 exec_lo, exec_lo, s3
	s_and_saveexec_b32 s3, s2
	s_cbranch_execz .LBB0_28
.LBB0_27:
	flat_load_u8 v5, v[8:9]
	s_wait_loadcnt_dscnt 0x0
	v_xor_b32_e32 v5, v7, v5
	s_delay_alu instid0(VALU_DEP_1)
	v_mul_lo_u32 v5, 0x5bd1e995, v5
.LBB0_28:
	s_wait_xcnt 0x0
	s_or_b32 exec_lo, exec_lo, s3
                                        ; implicit-def: $vgpr12
                                        ; implicit-def: $vgpr10
                                        ; implicit-def: $vgpr13
                                        ; implicit-def: $vgpr11
                                        ; implicit-def: $vgpr8_vgpr9
.LBB0_29:
	s_and_not1_saveexec_b32 s1, s1
	s_cbranch_execz .LBB0_35
; %bb.30:
	s_mov_b32 s2, 0
	s_mov_b32 s3, exec_lo
                                        ; implicit-def: $vgpr7
	v_cmpx_lt_i32_e32 1, v12
	s_xor_b32 s3, exec_lo, s3
	s_cbranch_execnz .LBB0_470
; %bb.31:
	s_and_not1_saveexec_b32 s3, s3
	s_cbranch_execnz .LBB0_471
.LBB0_32:
	s_or_b32 exec_lo, exec_lo, s3
	s_and_saveexec_b32 s3, s2
	s_cbranch_execz .LBB0_34
.LBB0_33:
	flat_load_u8 v8, v[8:9]
	s_wait_loadcnt_dscnt 0x0
	v_or_b32_e32 v12, v7, v8
.LBB0_34:
	s_wait_xcnt 0x0
	s_or_b32 exec_lo, exec_lo, s3
	s_delay_alu instid0(VALU_DEP_1) | instskip(NEXT) | instid1(VALU_DEP_1)
	v_dual_lshrrev_b32 v7, v10, v13 :: v_dual_lshlrev_b32 v8, v11, v12
	v_bitop3_b32 v5, v8, v5, v7 bitop3:0x36
	s_delay_alu instid0(VALU_DEP_1)
	v_mul_lo_u32 v5, 0x5bd1e995, v5
.LBB0_35:
	s_or_b32 exec_lo, exec_lo, s1
.LBB0_36:
	s_delay_alu instid0(SALU_CYCLE_1)
	s_or_b32 exec_lo, exec_lo, s0
	v_cvt_f32_u32_e32 v7, v6
	v_mov_b64_e32 v[10:11], 0x100000002
	s_get_pc_i64 s[2:3]
	s_add_nc_u64 s[2:3], s[2:3], .str.2@rel64+4
	v_cmp_lt_i32_e64 s0, 0, v4
	v_mbcnt_lo_u32_b32 v50, -1, 0
	v_rcp_iflag_f32_e32 v7, v7
	s_cmp_lg_u64 s[2:3], 0
	s_mov_b32 s4, 0
	s_cselect_b32 s22, -1, 0
	s_mov_b32 s5, 0
                                        ; implicit-def: $vgpr52
	v_dual_sub_nc_u32 v8, 0, v6 :: v_dual_mov_b32 v12, 33
	s_delay_alu instid0(TRANS32_DEP_1) | instskip(NEXT) | instid1(VALU_DEP_1)
	v_mul_f32_e32 v7, 0x4f7ffffe, v7
	v_cvt_u32_f32_e32 v7, v7
	s_delay_alu instid0(VALU_DEP_1) | instskip(NEXT) | instid1(VALU_DEP_1)
	v_mul_lo_u32 v8, v8, v7
	v_mul_hi_u32 v8, v7, v8
	s_delay_alu instid0(VALU_DEP_1) | instskip(NEXT) | instid1(VALU_DEP_1)
	v_dual_lshrrev_b32 v9, 13, v5 :: v_dual_add_nc_u32 v7, v7, v8
	v_xor_b32_e32 v5, v9, v5
	s_delay_alu instid0(VALU_DEP_1) | instskip(NEXT) | instid1(VALU_DEP_1)
	v_mul_lo_u32 v5, 0x5bd1e995, v5
	v_lshrrev_b32_e32 v9, 15, v5
	s_delay_alu instid0(VALU_DEP_1) | instskip(NEXT) | instid1(VALU_DEP_1)
	v_dual_mov_b32 v9, 0 :: v_dual_bitop2_b32 v5, v9, v5 bitop3:0x14
	v_mul_hi_u32 v7, v5, v7
	s_delay_alu instid0(VALU_DEP_1) | instskip(NEXT) | instid1(VALU_DEP_1)
	v_mul_lo_u32 v7, v7, v6
	v_sub_nc_u32_e32 v5, v5, v7
	s_delay_alu instid0(VALU_DEP_1) | instskip(SKIP_1) | instid1(VALU_DEP_2)
	v_sub_nc_u32_e32 v7, v5, v6
	v_cmp_ge_u32_e32 vcc_lo, v5, v6
	v_cndmask_b32_e32 v5, v5, v7, vcc_lo
	s_delay_alu instid0(VALU_DEP_1) | instskip(SKIP_1) | instid1(VALU_DEP_2)
	v_sub_nc_u32_e32 v7, v5, v6
	v_cmp_ge_u32_e32 vcc_lo, v5, v6
	v_dual_cndmask_b32 v7, v5, v7, vcc_lo :: v_dual_mov_b32 v5, -1
	s_delay_alu instid0(VALU_DEP_1)
	v_mov_b32_e32 v8, v7
	s_branch .LBB0_39
.LBB0_37:                               ;   in Loop: Header=BB0_39 Depth=1
	s_mov_b32 s6, -1
                                        ; implicit-def: $sgpr1
                                        ; implicit-def: $vgpr52
                                        ; implicit-def: $vgpr8
.LBB0_38:                               ;   in Loop: Header=BB0_39 Depth=1
	s_and_not1_b32 s5, s5, exec_lo
	s_and_b32 s1, s1, exec_lo
	s_and_b32 vcc_lo, exec_lo, s6
	s_or_b32 s5, s5, s1
	s_cbranch_vccnz .LBB0_461
.LBB0_39:                               ; =>This Loop Header: Depth=1
                                        ;     Child Loop BB0_48 Depth 2
                                        ;     Child Loop BB0_60 Depth 2
	;; [unrolled: 1-line block ×10, first 2 shown]
                                        ;       Child Loop BB0_89 Depth 3
                                        ;       Child Loop BB0_96 Depth 3
	;; [unrolled: 1-line block ×11, first 2 shown]
                                        ;     Child Loop BB0_193 Depth 2
                                        ;     Child Loop BB0_201 Depth 2
	;; [unrolled: 1-line block ×9, first 2 shown]
                                        ;       Child Loop BB0_222 Depth 3
                                        ;       Child Loop BB0_229 Depth 3
	;; [unrolled: 1-line block ×11, first 2 shown]
                                        ;     Child Loop BB0_326 Depth 2
                                        ;     Child Loop BB0_334 Depth 2
	;; [unrolled: 1-line block ×9, first 2 shown]
                                        ;       Child Loop BB0_355 Depth 3
                                        ;       Child Loop BB0_362 Depth 3
	;; [unrolled: 1-line block ×11, first 2 shown]
	v_cndmask_b32_e64 v13, 0, 1, s5
	s_delay_alu instid0(VALU_DEP_2) | instskip(NEXT) | instid1(VALU_DEP_2)
	v_mov_b32_e32 v51, v8
	v_cmp_ne_u32_e32 vcc_lo, 0, v13
	s_cmp_eq_u32 vcc_lo, exec_lo
	s_cbranch_scc1 .LBB0_37
; %bb.40:                               ;   in Loop: Header=BB0_39 Depth=1
	s_wait_loadcnt 0x0
	v_mad_nc_u64_u32 v[14:15], v8, 56, v[0:1]
	s_xor_b32 s1, s5, -1
	s_delay_alu instid0(SALU_CYCLE_1)
	s_and_saveexec_b32 s10, s1
	s_cbranch_execz .LBB0_44
; %bb.41:                               ;   in Loop: Header=BB0_39 Depth=1
	flat_atomic_cmpswap_b32 v52, v[14:15], v[4:5] offset:8 th:TH_ATOMIC_RETURN scope:SCOPE_DEV
	s_mov_b32 s11, exec_lo
	s_wait_loadcnt_dscnt 0x0
	s_wait_xcnt 0x0
	v_cmpx_eq_u32_e32 -1, v52
	s_cbranch_execz .LBB0_43
; %bb.42:                               ;   in Loop: Header=BB0_39 Depth=1
	s_mov_b32 s6, s4
	s_mov_b32 s7, s4
	;; [unrolled: 1-line block ×3, first 2 shown]
	v_mov_b64_e32 v[18:19], s[6:7]
	v_mov_b64_e32 v[16:17], s[4:5]
	v_mov_b32_e32 v52, -1
	s_clause 0x3
	flat_store_b64 v[14:15], v[2:3]
	flat_store_b128 v[14:15], v[16:19] offset:16
	flat_store_b128 v[14:15], v[16:19] offset:32
	;; [unrolled: 1-line block ×3, first 2 shown]
.LBB0_43:                               ;   in Loop: Header=BB0_39 Depth=1
	s_wait_xcnt 0x0
	s_or_b32 exec_lo, exec_lo, s11
.LBB0_44:                               ;   in Loop: Header=BB0_39 Depth=1
	s_delay_alu instid0(SALU_CYCLE_1) | instskip(SKIP_4) | instid1(SALU_CYCLE_1)
	s_or_b32 exec_lo, exec_lo, s10
	v_cmp_ne_u32_e32 vcc_lo, -1, v52
	s_mov_b32 s6, -1
	s_mov_b32 s5, 0
	s_and_b32 s7, s1, vcc_lo
	s_and_saveexec_b32 s1, s7
	s_cbranch_execz .LBB0_54
; %bb.45:                               ;   in Loop: Header=BB0_39 Depth=1
	flat_load_b32 v13, v[14:15] offset:8
	s_wait_loadcnt_dscnt 0x0
	v_cmp_ne_u32_e32 vcc_lo, -1, v13
	s_and_b32 s7, vcc_lo, s0
	s_wait_xcnt 0x0
	s_and_saveexec_b32 s5, s7
	s_cbranch_execz .LBB0_51
; %bb.46:                               ;   in Loop: Header=BB0_39 Depth=1
	flat_load_b64 v[14:15], v[14:15]
	v_mov_b64_e32 v[16:17], v[2:3]
	v_mov_b32_e32 v18, v4
	s_mov_b32 s6, 0
                                        ; implicit-def: $sgpr7
                                        ; implicit-def: $sgpr11
                                        ; implicit-def: $sgpr10
	s_branch .LBB0_48
.LBB0_47:                               ;   in Loop: Header=BB0_48 Depth=2
	s_or_b32 exec_lo, exec_lo, s12
	s_xor_b32 s12, s10, -1
	s_and_b32 s13, exec_lo, s11
	s_delay_alu instid0(SALU_CYCLE_1) | instskip(SKIP_2) | instid1(SALU_CYCLE_1)
	s_or_b32 s6, s13, s6
	s_and_not1_b32 s7, s7, exec_lo
	s_and_b32 s12, s12, exec_lo
	s_or_b32 s7, s7, s12
	s_and_not1_b32 exec_lo, exec_lo, s6
	s_cbranch_execz .LBB0_50
.LBB0_48:                               ;   Parent Loop BB0_39 Depth=1
                                        ; =>  This Inner Loop Header: Depth=2
	s_wait_loadcnt_dscnt 0x0
	flat_load_u8 v19, v[14:15]
	flat_load_u8 v20, v[16:17]
	s_or_b32 s10, s10, exec_lo
	s_or_b32 s11, s11, exec_lo
	s_mov_b32 s12, exec_lo
	s_wait_loadcnt_dscnt 0x0
	s_wait_xcnt 0x0
	v_cmpx_eq_u16_e64 v19, v20
	s_cbranch_execz .LBB0_47
; %bb.49:                               ;   in Loop: Header=BB0_48 Depth=2
	v_add_nc_u32_e32 v18, -1, v18
	v_add_nc_u64_e32 v[16:17], 1, v[16:17]
	v_add_nc_u64_e32 v[14:15], 1, v[14:15]
	s_and_not1_b32 s11, s11, exec_lo
	s_and_not1_b32 s10, s10, exec_lo
	v_cmp_eq_u32_e32 vcc_lo, 0, v18
	s_and_b32 s13, vcc_lo, exec_lo
	s_delay_alu instid0(SALU_CYCLE_1)
	s_or_b32 s11, s11, s13
	s_branch .LBB0_47
.LBB0_50:                               ;   in Loop: Header=BB0_39 Depth=1
	s_or_b32 exec_lo, exec_lo, s6
	s_delay_alu instid0(SALU_CYCLE_1)
	s_or_not1_b32 s6, s7, exec_lo
.LBB0_51:                               ;   in Loop: Header=BB0_39 Depth=1
	s_or_b32 exec_lo, exec_lo, s5
	s_mov_b32 s5, 0
	s_and_saveexec_b32 s7, s6
; %bb.52:                               ;   in Loop: Header=BB0_39 Depth=1
	v_cmp_eq_u32_e32 vcc_lo, v13, v4
	s_and_b32 s5, vcc_lo, exec_lo
; %bb.53:                               ;   in Loop: Header=BB0_39 Depth=1
	s_or_b32 exec_lo, exec_lo, s7
	s_xor_b32 s7, s5, -1
	s_or_not1_b32 s6, s5, exec_lo
	s_and_b32 s5, s7, exec_lo
.LBB0_54:                               ;   in Loop: Header=BB0_39 Depth=1
	s_or_b32 exec_lo, exec_lo, s1
	v_cndmask_b32_e64 v13, 0, 1, s6
	s_mov_b32 s6, -1
                                        ; implicit-def: $sgpr1
	s_delay_alu instid0(VALU_DEP_1)
	v_cmp_ne_u32_e32 vcc_lo, 0, v13
	s_cmp_eq_u32 vcc_lo, exec_lo
	s_cbranch_scc1 .LBB0_460
; %bb.55:                               ;   in Loop: Header=BB0_39 Depth=1
	s_mov_b32 s1, -1
	s_and_saveexec_b32 s6, s5
	s_delay_alu instid0(SALU_CYCLE_1)
	s_xor_b32 s23, exec_lo, s6
	s_cbranch_execz .LBB0_459
; %bb.56:                               ;   in Loop: Header=BB0_39 Depth=1
	v_add_nc_u32_e32 v8, 1, v8
	s_mov_b32 s1, 0
	s_mov_b32 s24, exec_lo
	s_delay_alu instid0(VALU_DEP_1) | instskip(SKIP_1) | instid1(VALU_DEP_1)
	v_cmp_ne_u32_e32 vcc_lo, v8, v6
	v_cndmask_b32_e32 v8, 0, v8, vcc_lo
	v_cmpx_eq_u32_e64 v8, v7
	s_cbranch_execz .LBB0_458
; %bb.57:                               ;   in Loop: Header=BB0_39 Depth=1
	s_load_b64 s[10:11], s[8:9], 0x50
	v_readfirstlane_b32 s1, v50
	v_mov_b64_e32 v[14:15], 0
	s_delay_alu instid0(VALU_DEP_2)
	v_cmp_eq_u32_e64 s1, s1, v50
	s_and_saveexec_b32 s5, s1
	s_cbranch_execz .LBB0_63
; %bb.58:                               ;   in Loop: Header=BB0_39 Depth=1
	s_wait_kmcnt 0x0
	global_load_b64 v[16:17], v9, s[10:11] offset:24 scope:SCOPE_SYS
	s_wait_loadcnt 0x0
	global_inv scope:SCOPE_SYS
	s_clause 0x1
	global_load_b64 v[14:15], v9, s[10:11] offset:40
	global_load_b64 v[18:19], v9, s[10:11]
	s_mov_b32 s6, exec_lo
	s_wait_loadcnt 0x1
	v_and_b32_e32 v14, v14, v16
	v_and_b32_e32 v15, v15, v17
	s_delay_alu instid0(VALU_DEP_1) | instskip(SKIP_1) | instid1(VALU_DEP_1)
	v_mul_u64_e32 v[14:15], 24, v[14:15]
	s_wait_loadcnt 0x0
	v_add_nc_u64_e32 v[14:15], v[18:19], v[14:15]
	global_load_b64 v[14:15], v[14:15], off scope:SCOPE_SYS
	s_wait_xcnt 0x0
	s_wait_loadcnt 0x0
	global_atomic_cmpswap_b64 v[14:15], v9, v[14:17], s[10:11] offset:24 th:TH_ATOMIC_RETURN scope:SCOPE_SYS
	s_wait_loadcnt 0x0
	global_inv scope:SCOPE_SYS
	s_wait_xcnt 0x0
	v_cmpx_ne_u64_e64 v[14:15], v[16:17]
	s_cbranch_execz .LBB0_62
; %bb.59:                               ;   in Loop: Header=BB0_39 Depth=1
	s_mov_b32 s7, 0
.LBB0_60:                               ;   Parent Loop BB0_39 Depth=1
                                        ; =>  This Inner Loop Header: Depth=2
	s_sleep 1
	s_clause 0x1
	global_load_b64 v[18:19], v9, s[10:11] offset:40
	global_load_b64 v[20:21], v9, s[10:11]
	v_mov_b64_e32 v[16:17], v[14:15]
	s_wait_loadcnt 0x1
	s_delay_alu instid0(VALU_DEP_1) | instskip(SKIP_1) | instid1(VALU_DEP_1)
	v_and_b32_e32 v8, v18, v16
	s_wait_loadcnt 0x0
	v_mad_nc_u64_u32 v[14:15], v8, 24, v[20:21]
	s_delay_alu instid0(VALU_DEP_3) | instskip(NEXT) | instid1(VALU_DEP_1)
	v_and_b32_e32 v8, v19, v17
	v_mad_u32 v15, v8, 24, v15
	global_load_b64 v[14:15], v[14:15], off scope:SCOPE_SYS
	s_wait_xcnt 0x0
	s_wait_loadcnt 0x0
	global_atomic_cmpswap_b64 v[14:15], v9, v[14:17], s[10:11] offset:24 th:TH_ATOMIC_RETURN scope:SCOPE_SYS
	s_wait_loadcnt 0x0
	global_inv scope:SCOPE_SYS
	v_cmp_eq_u64_e32 vcc_lo, v[14:15], v[16:17]
	s_or_b32 s7, vcc_lo, s7
	s_wait_xcnt 0x0
	s_and_not1_b32 exec_lo, exec_lo, s7
	s_cbranch_execnz .LBB0_60
; %bb.61:                               ;   in Loop: Header=BB0_39 Depth=1
	s_or_b32 exec_lo, exec_lo, s7
.LBB0_62:                               ;   in Loop: Header=BB0_39 Depth=1
	s_delay_alu instid0(SALU_CYCLE_1)
	s_or_b32 exec_lo, exec_lo, s6
.LBB0_63:                               ;   in Loop: Header=BB0_39 Depth=1
	s_delay_alu instid0(SALU_CYCLE_1)
	s_or_b32 exec_lo, exec_lo, s5
	s_wait_kmcnt 0x0
	s_clause 0x1
	global_load_b64 v[20:21], v9, s[10:11] offset:40
	global_load_b128 v[16:19], v9, s[10:11]
	v_readfirstlane_b32 s12, v14
	v_readfirstlane_b32 s13, v15
	s_mov_b32 s5, exec_lo
	s_wait_loadcnt 0x1
	v_and_b32_e32 v14, s12, v20
	v_and_b32_e32 v15, s13, v21
	s_delay_alu instid0(VALU_DEP_1) | instskip(SKIP_1) | instid1(VALU_DEP_1)
	v_mul_u64_e32 v[20:21], 24, v[14:15]
	s_wait_loadcnt 0x0
	v_add_nc_u64_e32 v[20:21], v[16:17], v[20:21]
	s_wait_xcnt 0x0
	s_and_saveexec_b32 s6, s1
	s_cbranch_execz .LBB0_65
; %bb.64:                               ;   in Loop: Header=BB0_39 Depth=1
	v_mov_b32_e32 v8, s5
	global_store_b128 v[20:21], v[8:11], off offset:8
.LBB0_65:                               ;   in Loop: Header=BB0_39 Depth=1
	s_wait_xcnt 0x0
	s_or_b32 exec_lo, exec_lo, s6
	v_lshlrev_b64_e32 v[14:15], 12, v[14:15]
	s_mov_b32 s6, s4
	s_mov_b32 s7, s4
	;; [unrolled: 1-line block ×3, first 2 shown]
	v_mov_b64_e32 v[24:25], s[6:7]
	v_mov_b64_e32 v[22:23], s[4:5]
	v_dual_mov_b32 v13, v9 :: v_dual_lshlrev_b32 v36, 6, v50
	v_add_nc_u64_e32 v[18:19], v[18:19], v[14:15]
	v_dual_mov_b32 v14, v9 :: v_dual_mov_b32 v15, v9
	s_delay_alu instid0(VALU_DEP_2) | instskip(NEXT) | instid1(VALU_DEP_3)
	v_readfirstlane_b32 s14, v18
	v_readfirstlane_b32 s15, v19
	s_clause 0x3
	global_store_b128 v36, v[12:15], s[14:15]
	global_store_b128 v36, v[22:25], s[14:15] offset:16
	global_store_b128 v36, v[22:25], s[14:15] offset:32
	;; [unrolled: 1-line block ×3, first 2 shown]
	s_wait_xcnt 0x0
	s_and_saveexec_b32 s5, s1
	s_cbranch_execz .LBB0_73
; %bb.66:                               ;   in Loop: Header=BB0_39 Depth=1
	s_clause 0x1
	global_load_b64 v[26:27], v9, s[10:11] offset:32 scope:SCOPE_SYS
	global_load_b64 v[14:15], v9, s[10:11] offset:40
	s_mov_b32 s6, exec_lo
	v_dual_mov_b32 v24, s12 :: v_dual_mov_b32 v25, s13
	s_wait_loadcnt 0x0
	v_and_b32_e32 v15, s13, v15
	v_and_b32_e32 v14, s12, v14
	s_delay_alu instid0(VALU_DEP_1) | instskip(NEXT) | instid1(VALU_DEP_1)
	v_mul_u64_e32 v[14:15], 24, v[14:15]
	v_add_nc_u64_e32 v[22:23], v[16:17], v[14:15]
	global_store_b64 v[22:23], v[26:27], off
	global_wb scope:SCOPE_SYS
	s_wait_storecnt 0x0
	s_wait_xcnt 0x0
	global_atomic_cmpswap_b64 v[16:17], v9, v[24:27], s[10:11] offset:32 th:TH_ATOMIC_RETURN scope:SCOPE_SYS
	s_wait_loadcnt 0x0
	v_cmpx_ne_u64_e64 v[16:17], v[26:27]
	s_cbranch_execz .LBB0_69
; %bb.67:                               ;   in Loop: Header=BB0_39 Depth=1
	s_mov_b32 s7, 0
.LBB0_68:                               ;   Parent Loop BB0_39 Depth=1
                                        ; =>  This Inner Loop Header: Depth=2
	v_dual_mov_b32 v14, s12 :: v_dual_mov_b32 v15, s13
	s_sleep 1
	global_store_b64 v[22:23], v[16:17], off
	global_wb scope:SCOPE_SYS
	s_wait_storecnt 0x0
	s_wait_xcnt 0x0
	global_atomic_cmpswap_b64 v[14:15], v9, v[14:17], s[10:11] offset:32 th:TH_ATOMIC_RETURN scope:SCOPE_SYS
	s_wait_loadcnt 0x0
	v_cmp_eq_u64_e32 vcc_lo, v[14:15], v[16:17]
	v_mov_b64_e32 v[16:17], v[14:15]
	s_or_b32 s7, vcc_lo, s7
	s_delay_alu instid0(SALU_CYCLE_1)
	s_and_not1_b32 exec_lo, exec_lo, s7
	s_cbranch_execnz .LBB0_68
.LBB0_69:                               ;   in Loop: Header=BB0_39 Depth=1
	s_or_b32 exec_lo, exec_lo, s6
	global_load_b64 v[14:15], v9, s[10:11] offset:16
	s_mov_b32 s7, exec_lo
	s_mov_b32 s6, exec_lo
	v_mbcnt_lo_u32_b32 v8, s7, 0
	s_wait_xcnt 0x0
	s_delay_alu instid0(VALU_DEP_1)
	v_cmpx_eq_u32_e32 0, v8
	s_cbranch_execz .LBB0_71
; %bb.70:                               ;   in Loop: Header=BB0_39 Depth=1
	s_bcnt1_i32_b32 s7, s7
	s_delay_alu instid0(SALU_CYCLE_1)
	v_mov_b32_e32 v8, s7
	global_wb scope:SCOPE_SYS
	s_wait_loadcnt 0x0
	s_wait_storecnt 0x0
	global_atomic_add_u64 v[14:15], v[8:9], off offset:8 scope:SCOPE_SYS
.LBB0_71:                               ;   in Loop: Header=BB0_39 Depth=1
	s_wait_xcnt 0x0
	s_or_b32 exec_lo, exec_lo, s6
	s_wait_loadcnt 0x0
	global_load_b64 v[16:17], v[14:15], off offset:16
	s_wait_loadcnt 0x0
	v_cmp_eq_u64_e32 vcc_lo, 0, v[16:17]
	s_cbranch_vccnz .LBB0_73
; %bb.72:                               ;   in Loop: Header=BB0_39 Depth=1
	global_load_b32 v8, v[14:15], off offset:24
	s_wait_loadcnt 0x0
	v_readfirstlane_b32 s6, v8
	global_wb scope:SCOPE_SYS
	s_wait_storecnt 0x0
	s_wait_xcnt 0x0
	global_store_b64 v[16:17], v[8:9], off scope:SCOPE_SYS
	s_and_b32 m0, s6, 0xffffff
	s_sendmsg sendmsg(MSG_INTERRUPT)
.LBB0_73:                               ;   in Loop: Header=BB0_39 Depth=1
	s_wait_xcnt 0x0
	s_or_b32 exec_lo, exec_lo, s5
	v_mov_b32_e32 v37, v9
	s_delay_alu instid0(VALU_DEP_1)
	v_add_nc_u64_e32 v[14:15], v[18:19], v[36:37]
	s_branch .LBB0_77
.LBB0_74:                               ;   in Loop: Header=BB0_77 Depth=2
	s_wait_xcnt 0x0
	s_or_b32 exec_lo, exec_lo, s5
	s_delay_alu instid0(VALU_DEP_1)
	v_readfirstlane_b32 s5, v8
	s_cmp_eq_u32 s5, 0
	s_cbranch_scc1 .LBB0_76
; %bb.75:                               ;   in Loop: Header=BB0_77 Depth=2
	s_sleep 1
	s_cbranch_execnz .LBB0_77
	s_branch .LBB0_79
.LBB0_76:                               ;   in Loop: Header=BB0_39 Depth=1
	s_branch .LBB0_79
.LBB0_77:                               ;   Parent Loop BB0_39 Depth=1
                                        ; =>  This Inner Loop Header: Depth=2
	v_mov_b32_e32 v8, 1
	s_and_saveexec_b32 s5, s1
	s_cbranch_execz .LBB0_74
; %bb.78:                               ;   in Loop: Header=BB0_77 Depth=2
	global_load_b32 v8, v[20:21], off offset:20 scope:SCOPE_SYS
	s_wait_loadcnt 0x0
	global_inv scope:SCOPE_SYS
	v_and_b32_e32 v8, 1, v8
	s_branch .LBB0_74
.LBB0_79:                               ;   in Loop: Header=BB0_39 Depth=1
	global_load_b64 v[14:15], v[14:15], off
	s_wait_xcnt 0x0
	s_and_saveexec_b32 s5, s1
	s_cbranch_execz .LBB0_83
; %bb.80:                               ;   in Loop: Header=BB0_39 Depth=1
	s_clause 0x2
	global_load_b64 v[16:17], v9, s[10:11] offset:40
	global_load_b64 v[24:25], v9, s[10:11] offset:24 scope:SCOPE_SYS
	global_load_b64 v[18:19], v9, s[10:11]
	s_wait_loadcnt 0x2
	v_readfirstlane_b32 s14, v16
	v_readfirstlane_b32 s15, v17
	s_add_nc_u64 s[6:7], s[14:15], 1
	s_delay_alu instid0(SALU_CYCLE_1) | instskip(NEXT) | instid1(SALU_CYCLE_1)
	s_add_nc_u64 s[12:13], s[6:7], s[12:13]
	s_cmp_eq_u64 s[12:13], 0
	s_cselect_b32 s7, s7, s13
	s_cselect_b32 s6, s6, s12
	s_delay_alu instid0(SALU_CYCLE_1) | instskip(SKIP_1) | instid1(SALU_CYCLE_1)
	v_dual_mov_b32 v23, s7 :: v_dual_mov_b32 v22, s6
	s_and_b64 s[12:13], s[6:7], s[14:15]
	s_mul_u64 s[12:13], s[12:13], 24
	s_wait_loadcnt 0x0
	v_add_nc_u64_e32 v[20:21], s[12:13], v[18:19]
	global_store_b64 v[20:21], v[24:25], off
	global_wb scope:SCOPE_SYS
	s_wait_storecnt 0x0
	s_wait_xcnt 0x0
	global_atomic_cmpswap_b64 v[18:19], v9, v[22:25], s[10:11] offset:24 th:TH_ATOMIC_RETURN scope:SCOPE_SYS
	s_wait_loadcnt 0x0
	v_cmp_ne_u64_e32 vcc_lo, v[18:19], v[24:25]
	s_and_b32 exec_lo, exec_lo, vcc_lo
	s_cbranch_execz .LBB0_83
; %bb.81:                               ;   in Loop: Header=BB0_39 Depth=1
	s_mov_b32 s1, 0
.LBB0_82:                               ;   Parent Loop BB0_39 Depth=1
                                        ; =>  This Inner Loop Header: Depth=2
	v_dual_mov_b32 v16, s6 :: v_dual_mov_b32 v17, s7
	s_sleep 1
	global_store_b64 v[20:21], v[18:19], off
	global_wb scope:SCOPE_SYS
	s_wait_storecnt 0x0
	s_wait_xcnt 0x0
	global_atomic_cmpswap_b64 v[16:17], v9, v[16:19], s[10:11] offset:24 th:TH_ATOMIC_RETURN scope:SCOPE_SYS
	s_wait_loadcnt 0x0
	v_cmp_eq_u64_e32 vcc_lo, v[16:17], v[18:19]
	v_mov_b64_e32 v[18:19], v[16:17]
	s_or_b32 s1, vcc_lo, s1
	s_delay_alu instid0(SALU_CYCLE_1)
	s_and_not1_b32 exec_lo, exec_lo, s1
	s_cbranch_execnz .LBB0_82
.LBB0_83:                               ;   in Loop: Header=BB0_39 Depth=1
	s_or_b32 exec_lo, exec_lo, s5
	s_delay_alu instid0(SALU_CYCLE_1)
	s_and_b32 vcc_lo, exec_lo, s22
	s_cbranch_vccz .LBB0_162
; %bb.84:                               ;   in Loop: Header=BB0_39 Depth=1
	s_wait_loadcnt 0x0
	v_dual_mov_b32 v17, v15 :: v_dual_bitop2_b32 v16, -3, v14 bitop3:0x40
	s_mov_b64 s[6:7], 39
	s_mov_b64 s[12:13], s[2:3]
	s_branch .LBB0_86
.LBB0_85:                               ;   in Loop: Header=BB0_86 Depth=2
	s_or_b32 exec_lo, exec_lo, s5
	s_sub_nc_u64 s[6:7], s[6:7], s[14:15]
	s_add_nc_u64 s[12:13], s[12:13], s[14:15]
	s_cmp_lg_u64 s[6:7], 0
	s_cbranch_scc0 .LBB0_161
.LBB0_86:                               ;   Parent Loop BB0_39 Depth=1
                                        ; =>  This Loop Header: Depth=2
                                        ;       Child Loop BB0_89 Depth 3
                                        ;       Child Loop BB0_96 Depth 3
	;; [unrolled: 1-line block ×11, first 2 shown]
	s_wait_loadcnt 0x0
	v_min_u64 v[18:19], s[6:7], 56
	v_cmp_gt_u64_e64 s1, s[6:7], 7
	s_and_b32 vcc_lo, exec_lo, s1
	v_readfirstlane_b32 s14, v18
	v_readfirstlane_b32 s15, v19
	s_cbranch_vccnz .LBB0_91
; %bb.87:                               ;   in Loop: Header=BB0_86 Depth=2
	v_mov_b64_e32 v[18:19], 0
	s_cmp_eq_u64 s[6:7], 0
	s_cbranch_scc1 .LBB0_90
; %bb.88:                               ;   in Loop: Header=BB0_86 Depth=2
	s_mov_b64 s[16:17], 0
	s_mov_b64 s[18:19], 0
.LBB0_89:                               ;   Parent Loop BB0_39 Depth=1
                                        ;     Parent Loop BB0_86 Depth=2
                                        ; =>    This Inner Loop Header: Depth=3
	s_wait_xcnt 0x0
	s_add_nc_u64 s[20:21], s[12:13], s[18:19]
	s_add_nc_u64 s[18:19], s[18:19], 1
	global_load_u8 v8, v9, s[20:21]
	s_cmp_lg_u32 s14, s18
	s_wait_loadcnt 0x0
	v_and_b32_e32 v8, 0xffff, v8
	s_delay_alu instid0(VALU_DEP_1) | instskip(SKIP_1) | instid1(VALU_DEP_1)
	v_lshlrev_b64_e32 v[20:21], s16, v[8:9]
	s_add_nc_u64 s[16:17], s[16:17], 8
	v_or_b32_e32 v18, v20, v18
	s_delay_alu instid0(VALU_DEP_2)
	v_or_b32_e32 v19, v21, v19
	s_cbranch_scc1 .LBB0_89
.LBB0_90:                               ;   in Loop: Header=BB0_86 Depth=2
	s_mov_b64 s[16:17], s[12:13]
	s_mov_b32 s1, 0
	s_cbranch_execz .LBB0_92
	s_branch .LBB0_93
.LBB0_91:                               ;   in Loop: Header=BB0_86 Depth=2
	s_add_nc_u64 s[16:17], s[12:13], 8
	s_mov_b32 s1, 0
.LBB0_92:                               ;   in Loop: Header=BB0_86 Depth=2
	global_load_b64 v[18:19], v9, s[12:13]
	s_add_co_i32 s1, s14, -8
.LBB0_93:                               ;   in Loop: Header=BB0_86 Depth=2
	s_delay_alu instid0(SALU_CYCLE_1)
	s_cmp_gt_u32 s1, 7
	s_cbranch_scc1 .LBB0_98
; %bb.94:                               ;   in Loop: Header=BB0_86 Depth=2
	v_mov_b64_e32 v[20:21], 0
	s_cmp_eq_u32 s1, 0
	s_cbranch_scc1 .LBB0_97
; %bb.95:                               ;   in Loop: Header=BB0_86 Depth=2
	s_mov_b64 s[18:19], 0
	s_wait_xcnt 0x0
	s_mov_b64 s[20:21], 0
.LBB0_96:                               ;   Parent Loop BB0_39 Depth=1
                                        ;     Parent Loop BB0_86 Depth=2
                                        ; =>    This Inner Loop Header: Depth=3
	s_wait_xcnt 0x0
	s_add_nc_u64 s[26:27], s[16:17], s[20:21]
	s_add_nc_u64 s[20:21], s[20:21], 1
	global_load_u8 v8, v9, s[26:27]
	s_cmp_lg_u32 s1, s20
	s_wait_loadcnt 0x0
	v_and_b32_e32 v8, 0xffff, v8
	s_delay_alu instid0(VALU_DEP_1) | instskip(SKIP_1) | instid1(VALU_DEP_1)
	v_lshlrev_b64_e32 v[22:23], s18, v[8:9]
	s_add_nc_u64 s[18:19], s[18:19], 8
	v_or_b32_e32 v20, v22, v20
	s_delay_alu instid0(VALU_DEP_2)
	v_or_b32_e32 v21, v23, v21
	s_cbranch_scc1 .LBB0_96
.LBB0_97:                               ;   in Loop: Header=BB0_86 Depth=2
	s_mov_b64 s[18:19], s[16:17]
	s_mov_b32 s5, 0
	s_cbranch_execz .LBB0_99
	s_branch .LBB0_100
.LBB0_98:                               ;   in Loop: Header=BB0_86 Depth=2
	s_add_nc_u64 s[18:19], s[16:17], 8
                                        ; implicit-def: $vgpr20_vgpr21
	s_mov_b32 s5, 0
.LBB0_99:                               ;   in Loop: Header=BB0_86 Depth=2
	global_load_b64 v[20:21], v9, s[16:17]
	s_add_co_i32 s5, s1, -8
.LBB0_100:                              ;   in Loop: Header=BB0_86 Depth=2
	s_delay_alu instid0(SALU_CYCLE_1)
	s_cmp_gt_u32 s5, 7
	s_cbranch_scc1 .LBB0_105
; %bb.101:                              ;   in Loop: Header=BB0_86 Depth=2
	v_mov_b64_e32 v[22:23], 0
	s_cmp_eq_u32 s5, 0
	s_cbranch_scc1 .LBB0_104
; %bb.102:                              ;   in Loop: Header=BB0_86 Depth=2
	s_wait_xcnt 0x0
	s_mov_b64 s[16:17], 0
	s_mov_b64 s[20:21], 0
.LBB0_103:                              ;   Parent Loop BB0_39 Depth=1
                                        ;     Parent Loop BB0_86 Depth=2
                                        ; =>    This Inner Loop Header: Depth=3
	s_wait_xcnt 0x0
	s_add_nc_u64 s[26:27], s[18:19], s[20:21]
	s_add_nc_u64 s[20:21], s[20:21], 1
	global_load_u8 v8, v9, s[26:27]
	s_cmp_lg_u32 s5, s20
	s_wait_loadcnt 0x0
	v_and_b32_e32 v8, 0xffff, v8
	s_delay_alu instid0(VALU_DEP_1) | instskip(SKIP_1) | instid1(VALU_DEP_1)
	v_lshlrev_b64_e32 v[24:25], s16, v[8:9]
	s_add_nc_u64 s[16:17], s[16:17], 8
	v_or_b32_e32 v22, v24, v22
	s_delay_alu instid0(VALU_DEP_2)
	v_or_b32_e32 v23, v25, v23
	s_cbranch_scc1 .LBB0_103
.LBB0_104:                              ;   in Loop: Header=BB0_86 Depth=2
	s_wait_xcnt 0x0
	s_mov_b64 s[16:17], s[18:19]
	s_mov_b32 s1, 0
	s_cbranch_execz .LBB0_106
	s_branch .LBB0_107
.LBB0_105:                              ;   in Loop: Header=BB0_86 Depth=2
	s_wait_xcnt 0x0
	s_add_nc_u64 s[16:17], s[18:19], 8
	s_mov_b32 s1, 0
.LBB0_106:                              ;   in Loop: Header=BB0_86 Depth=2
	global_load_b64 v[22:23], v9, s[18:19]
	s_add_co_i32 s1, s5, -8
.LBB0_107:                              ;   in Loop: Header=BB0_86 Depth=2
	s_delay_alu instid0(SALU_CYCLE_1)
	s_cmp_gt_u32 s1, 7
	s_cbranch_scc1 .LBB0_112
; %bb.108:                              ;   in Loop: Header=BB0_86 Depth=2
	v_mov_b64_e32 v[24:25], 0
	s_cmp_eq_u32 s1, 0
	s_cbranch_scc1 .LBB0_111
; %bb.109:                              ;   in Loop: Header=BB0_86 Depth=2
	s_wait_xcnt 0x0
	s_mov_b64 s[18:19], 0
	s_mov_b64 s[20:21], 0
.LBB0_110:                              ;   Parent Loop BB0_39 Depth=1
                                        ;     Parent Loop BB0_86 Depth=2
                                        ; =>    This Inner Loop Header: Depth=3
	s_wait_xcnt 0x0
	s_add_nc_u64 s[26:27], s[16:17], s[20:21]
	s_add_nc_u64 s[20:21], s[20:21], 1
	global_load_u8 v8, v9, s[26:27]
	s_cmp_lg_u32 s1, s20
	s_wait_loadcnt 0x0
	v_and_b32_e32 v8, 0xffff, v8
	s_delay_alu instid0(VALU_DEP_1) | instskip(SKIP_1) | instid1(VALU_DEP_1)
	v_lshlrev_b64_e32 v[26:27], s18, v[8:9]
	s_add_nc_u64 s[18:19], s[18:19], 8
	v_or_b32_e32 v24, v26, v24
	s_delay_alu instid0(VALU_DEP_2)
	v_or_b32_e32 v25, v27, v25
	s_cbranch_scc1 .LBB0_110
.LBB0_111:                              ;   in Loop: Header=BB0_86 Depth=2
	s_wait_xcnt 0x0
	s_mov_b64 s[18:19], s[16:17]
	s_mov_b32 s5, 0
	s_cbranch_execz .LBB0_113
	s_branch .LBB0_114
.LBB0_112:                              ;   in Loop: Header=BB0_86 Depth=2
	s_wait_xcnt 0x0
	s_add_nc_u64 s[18:19], s[16:17], 8
                                        ; implicit-def: $vgpr24_vgpr25
	s_mov_b32 s5, 0
.LBB0_113:                              ;   in Loop: Header=BB0_86 Depth=2
	global_load_b64 v[24:25], v9, s[16:17]
	s_add_co_i32 s5, s1, -8
.LBB0_114:                              ;   in Loop: Header=BB0_86 Depth=2
	s_delay_alu instid0(SALU_CYCLE_1)
	s_cmp_gt_u32 s5, 7
	s_cbranch_scc1 .LBB0_119
; %bb.115:                              ;   in Loop: Header=BB0_86 Depth=2
	v_mov_b64_e32 v[26:27], 0
	s_cmp_eq_u32 s5, 0
	s_cbranch_scc1 .LBB0_118
; %bb.116:                              ;   in Loop: Header=BB0_86 Depth=2
	s_wait_xcnt 0x0
	s_mov_b64 s[16:17], 0
	s_mov_b64 s[20:21], 0
.LBB0_117:                              ;   Parent Loop BB0_39 Depth=1
                                        ;     Parent Loop BB0_86 Depth=2
                                        ; =>    This Inner Loop Header: Depth=3
	s_wait_xcnt 0x0
	s_add_nc_u64 s[26:27], s[18:19], s[20:21]
	s_add_nc_u64 s[20:21], s[20:21], 1
	global_load_u8 v8, v9, s[26:27]
	s_cmp_lg_u32 s5, s20
	s_wait_loadcnt 0x0
	v_and_b32_e32 v8, 0xffff, v8
	s_delay_alu instid0(VALU_DEP_1) | instskip(SKIP_1) | instid1(VALU_DEP_1)
	v_lshlrev_b64_e32 v[28:29], s16, v[8:9]
	s_add_nc_u64 s[16:17], s[16:17], 8
	v_or_b32_e32 v26, v28, v26
	s_delay_alu instid0(VALU_DEP_2)
	v_or_b32_e32 v27, v29, v27
	s_cbranch_scc1 .LBB0_117
.LBB0_118:                              ;   in Loop: Header=BB0_86 Depth=2
	s_wait_xcnt 0x0
	s_mov_b64 s[16:17], s[18:19]
	s_mov_b32 s1, 0
	s_cbranch_execz .LBB0_120
	s_branch .LBB0_121
.LBB0_119:                              ;   in Loop: Header=BB0_86 Depth=2
	s_wait_xcnt 0x0
	s_add_nc_u64 s[16:17], s[18:19], 8
	s_mov_b32 s1, 0
.LBB0_120:                              ;   in Loop: Header=BB0_86 Depth=2
	global_load_b64 v[26:27], v9, s[18:19]
	s_add_co_i32 s1, s5, -8
.LBB0_121:                              ;   in Loop: Header=BB0_86 Depth=2
	s_delay_alu instid0(SALU_CYCLE_1)
	s_cmp_gt_u32 s1, 7
	s_cbranch_scc1 .LBB0_126
; %bb.122:                              ;   in Loop: Header=BB0_86 Depth=2
	v_mov_b64_e32 v[28:29], 0
	s_cmp_eq_u32 s1, 0
	s_cbranch_scc1 .LBB0_125
; %bb.123:                              ;   in Loop: Header=BB0_86 Depth=2
	s_wait_xcnt 0x0
	s_mov_b64 s[18:19], 0
	s_mov_b64 s[20:21], 0
.LBB0_124:                              ;   Parent Loop BB0_39 Depth=1
                                        ;     Parent Loop BB0_86 Depth=2
                                        ; =>    This Inner Loop Header: Depth=3
	s_wait_xcnt 0x0
	s_add_nc_u64 s[26:27], s[16:17], s[20:21]
	s_add_nc_u64 s[20:21], s[20:21], 1
	global_load_u8 v8, v9, s[26:27]
	s_cmp_lg_u32 s1, s20
	s_wait_loadcnt 0x0
	v_and_b32_e32 v8, 0xffff, v8
	s_delay_alu instid0(VALU_DEP_1) | instskip(SKIP_1) | instid1(VALU_DEP_1)
	v_lshlrev_b64_e32 v[30:31], s18, v[8:9]
	s_add_nc_u64 s[18:19], s[18:19], 8
	v_or_b32_e32 v28, v30, v28
	s_delay_alu instid0(VALU_DEP_2)
	v_or_b32_e32 v29, v31, v29
	s_cbranch_scc1 .LBB0_124
.LBB0_125:                              ;   in Loop: Header=BB0_86 Depth=2
	s_wait_xcnt 0x0
	s_mov_b64 s[18:19], s[16:17]
	s_mov_b32 s5, 0
	s_cbranch_execz .LBB0_127
	s_branch .LBB0_128
.LBB0_126:                              ;   in Loop: Header=BB0_86 Depth=2
	s_wait_xcnt 0x0
	s_add_nc_u64 s[18:19], s[16:17], 8
                                        ; implicit-def: $vgpr28_vgpr29
	s_mov_b32 s5, 0
.LBB0_127:                              ;   in Loop: Header=BB0_86 Depth=2
	global_load_b64 v[28:29], v9, s[16:17]
	s_add_co_i32 s5, s1, -8
.LBB0_128:                              ;   in Loop: Header=BB0_86 Depth=2
	s_delay_alu instid0(SALU_CYCLE_1)
	s_cmp_gt_u32 s5, 7
	s_cbranch_scc1 .LBB0_133
; %bb.129:                              ;   in Loop: Header=BB0_86 Depth=2
	v_mov_b64_e32 v[30:31], 0
	s_cmp_eq_u32 s5, 0
	s_cbranch_scc1 .LBB0_132
; %bb.130:                              ;   in Loop: Header=BB0_86 Depth=2
	s_wait_xcnt 0x0
	s_mov_b64 s[16:17], 0
	s_mov_b64 s[20:21], s[18:19]
.LBB0_131:                              ;   Parent Loop BB0_39 Depth=1
                                        ;     Parent Loop BB0_86 Depth=2
                                        ; =>    This Inner Loop Header: Depth=3
	global_load_u8 v8, v9, s[20:21]
	s_add_co_i32 s5, s5, -1
	s_wait_xcnt 0x0
	s_add_nc_u64 s[20:21], s[20:21], 1
	s_cmp_lg_u32 s5, 0
	s_wait_loadcnt 0x0
	v_and_b32_e32 v8, 0xffff, v8
	s_delay_alu instid0(VALU_DEP_1) | instskip(SKIP_1) | instid1(VALU_DEP_1)
	v_lshlrev_b64_e32 v[32:33], s16, v[8:9]
	s_add_nc_u64 s[16:17], s[16:17], 8
	v_or_b32_e32 v30, v32, v30
	s_delay_alu instid0(VALU_DEP_2)
	v_or_b32_e32 v31, v33, v31
	s_cbranch_scc1 .LBB0_131
.LBB0_132:                              ;   in Loop: Header=BB0_86 Depth=2
	s_cbranch_execz .LBB0_134
	s_branch .LBB0_135
.LBB0_133:                              ;   in Loop: Header=BB0_86 Depth=2
.LBB0_134:                              ;   in Loop: Header=BB0_86 Depth=2
	global_load_b64 v[30:31], v9, s[18:19]
.LBB0_135:                              ;   in Loop: Header=BB0_86 Depth=2
	v_readfirstlane_b32 s1, v50
	v_mov_b64_e32 v[38:39], 0
	s_delay_alu instid0(VALU_DEP_2)
	v_cmp_eq_u32_e64 s1, s1, v50
	s_wait_xcnt 0x0
	s_and_saveexec_b32 s5, s1
	s_cbranch_execz .LBB0_141
; %bb.136:                              ;   in Loop: Header=BB0_86 Depth=2
	global_load_b64 v[34:35], v9, s[10:11] offset:24 scope:SCOPE_SYS
	s_wait_loadcnt 0x0
	global_inv scope:SCOPE_SYS
	s_clause 0x1
	global_load_b64 v[32:33], v9, s[10:11] offset:40
	global_load_b64 v[38:39], v9, s[10:11]
	s_mov_b32 s16, exec_lo
	s_wait_loadcnt 0x1
	v_and_b32_e32 v32, v32, v34
	v_and_b32_e32 v33, v33, v35
	s_delay_alu instid0(VALU_DEP_1) | instskip(SKIP_1) | instid1(VALU_DEP_1)
	v_mul_u64_e32 v[32:33], 24, v[32:33]
	s_wait_loadcnt 0x0
	v_add_nc_u64_e32 v[32:33], v[38:39], v[32:33]
	global_load_b64 v[32:33], v[32:33], off scope:SCOPE_SYS
	s_wait_xcnt 0x0
	s_wait_loadcnt 0x0
	global_atomic_cmpswap_b64 v[38:39], v9, v[32:35], s[10:11] offset:24 th:TH_ATOMIC_RETURN scope:SCOPE_SYS
	s_wait_loadcnt 0x0
	global_inv scope:SCOPE_SYS
	s_wait_xcnt 0x0
	v_cmpx_ne_u64_e64 v[38:39], v[34:35]
	s_cbranch_execz .LBB0_140
; %bb.137:                              ;   in Loop: Header=BB0_86 Depth=2
	s_mov_b32 s17, 0
.LBB0_138:                              ;   Parent Loop BB0_39 Depth=1
                                        ;     Parent Loop BB0_86 Depth=2
                                        ; =>    This Inner Loop Header: Depth=3
	s_sleep 1
	s_clause 0x1
	global_load_b64 v[32:33], v9, s[10:11] offset:40
	global_load_b64 v[48:49], v9, s[10:11]
	v_mov_b64_e32 v[34:35], v[38:39]
	s_wait_loadcnt 0x1
	s_delay_alu instid0(VALU_DEP_1) | instskip(SKIP_1) | instid1(VALU_DEP_1)
	v_and_b32_e32 v8, v32, v34
	s_wait_loadcnt 0x0
	v_mad_nc_u64_u32 v[38:39], v8, 24, v[48:49]
	s_delay_alu instid0(VALU_DEP_3) | instskip(NEXT) | instid1(VALU_DEP_1)
	v_and_b32_e32 v8, v33, v35
	v_mad_u32 v39, v8, 24, v39
	global_load_b64 v[32:33], v[38:39], off scope:SCOPE_SYS
	s_wait_xcnt 0x0
	s_wait_loadcnt 0x0
	global_atomic_cmpswap_b64 v[38:39], v9, v[32:35], s[10:11] offset:24 th:TH_ATOMIC_RETURN scope:SCOPE_SYS
	s_wait_loadcnt 0x0
	global_inv scope:SCOPE_SYS
	v_cmp_eq_u64_e32 vcc_lo, v[38:39], v[34:35]
	s_or_b32 s17, vcc_lo, s17
	s_wait_xcnt 0x0
	s_and_not1_b32 exec_lo, exec_lo, s17
	s_cbranch_execnz .LBB0_138
; %bb.139:                              ;   in Loop: Header=BB0_86 Depth=2
	s_or_b32 exec_lo, exec_lo, s17
.LBB0_140:                              ;   in Loop: Header=BB0_86 Depth=2
	s_delay_alu instid0(SALU_CYCLE_1)
	s_or_b32 exec_lo, exec_lo, s16
.LBB0_141:                              ;   in Loop: Header=BB0_86 Depth=2
	s_delay_alu instid0(SALU_CYCLE_1)
	s_or_b32 exec_lo, exec_lo, s5
	s_clause 0x1
	global_load_b64 v[48:49], v9, s[10:11] offset:40
	global_load_b128 v[32:35], v9, s[10:11]
	v_readfirstlane_b32 s16, v38
	v_readfirstlane_b32 s17, v39
	s_mov_b32 s5, exec_lo
	s_wait_loadcnt 0x1
	v_and_b32_e32 v48, s16, v48
	v_and_b32_e32 v49, s17, v49
	s_delay_alu instid0(VALU_DEP_1) | instskip(SKIP_1) | instid1(VALU_DEP_1)
	v_mul_u64_e32 v[38:39], 24, v[48:49]
	s_wait_loadcnt 0x0
	v_add_nc_u64_e32 v[38:39], v[32:33], v[38:39]
	s_wait_xcnt 0x0
	s_and_saveexec_b32 s18, s1
	s_cbranch_execz .LBB0_143
; %bb.142:                              ;   in Loop: Header=BB0_86 Depth=2
	v_mov_b32_e32 v8, s5
	global_store_b128 v[38:39], v[8:11], off offset:8
.LBB0_143:                              ;   in Loop: Header=BB0_86 Depth=2
	s_wait_xcnt 0x0
	s_or_b32 exec_lo, exec_lo, s18
	v_cmp_gt_u64_e64 s5, s[6:7], 56
	v_lshlrev_b64_e32 v[48:49], 12, v[48:49]
	v_and_b32_e32 v8, 0xffffff1f, v16
	s_and_b32 s5, s5, exec_lo
	s_delay_alu instid0(VALU_DEP_2) | instskip(SKIP_4) | instid1(VALU_DEP_2)
	v_add_nc_u64_e32 v[34:35], v[34:35], v[48:49]
	s_cselect_b32 s5, 0, 2
	s_lshl_b32 s18, s14, 2
	v_or_b32_e32 v8, s5, v8
	s_add_co_i32 s5, s18, 28
	v_readfirstlane_b32 s18, v34
	s_delay_alu instid0(VALU_DEP_3) | instskip(NEXT) | instid1(VALU_DEP_3)
	v_readfirstlane_b32 s19, v35
	v_and_or_b32 v16, 0x1e0, s5, v8
	s_clause 0x3
	global_store_b128 v36, v[16:19], s[18:19]
	global_store_b128 v36, v[20:23], s[18:19] offset:16
	global_store_b128 v36, v[24:27], s[18:19] offset:32
	;; [unrolled: 1-line block ×3, first 2 shown]
	s_wait_xcnt 0x0
	s_and_saveexec_b32 s5, s1
	s_cbranch_execz .LBB0_151
; %bb.144:                              ;   in Loop: Header=BB0_86 Depth=2
	s_clause 0x1
	global_load_b64 v[24:25], v9, s[10:11] offset:32 scope:SCOPE_SYS
	global_load_b64 v[16:17], v9, s[10:11] offset:40
	s_mov_b32 s18, exec_lo
	v_dual_mov_b32 v22, s16 :: v_dual_mov_b32 v23, s17
	s_wait_loadcnt 0x0
	v_and_b32_e32 v17, s17, v17
	v_and_b32_e32 v16, s16, v16
	s_delay_alu instid0(VALU_DEP_1) | instskip(NEXT) | instid1(VALU_DEP_1)
	v_mul_u64_e32 v[16:17], 24, v[16:17]
	v_add_nc_u64_e32 v[20:21], v[32:33], v[16:17]
	global_store_b64 v[20:21], v[24:25], off
	global_wb scope:SCOPE_SYS
	s_wait_storecnt 0x0
	s_wait_xcnt 0x0
	global_atomic_cmpswap_b64 v[18:19], v9, v[22:25], s[10:11] offset:32 th:TH_ATOMIC_RETURN scope:SCOPE_SYS
	s_wait_loadcnt 0x0
	v_cmpx_ne_u64_e64 v[18:19], v[24:25]
	s_cbranch_execz .LBB0_147
; %bb.145:                              ;   in Loop: Header=BB0_86 Depth=2
	s_mov_b32 s19, 0
.LBB0_146:                              ;   Parent Loop BB0_39 Depth=1
                                        ;     Parent Loop BB0_86 Depth=2
                                        ; =>    This Inner Loop Header: Depth=3
	v_dual_mov_b32 v16, s16 :: v_dual_mov_b32 v17, s17
	s_sleep 1
	global_store_b64 v[20:21], v[18:19], off
	global_wb scope:SCOPE_SYS
	s_wait_storecnt 0x0
	s_wait_xcnt 0x0
	global_atomic_cmpswap_b64 v[16:17], v9, v[16:19], s[10:11] offset:32 th:TH_ATOMIC_RETURN scope:SCOPE_SYS
	s_wait_loadcnt 0x0
	v_cmp_eq_u64_e32 vcc_lo, v[16:17], v[18:19]
	v_mov_b64_e32 v[18:19], v[16:17]
	s_or_b32 s19, vcc_lo, s19
	s_delay_alu instid0(SALU_CYCLE_1)
	s_and_not1_b32 exec_lo, exec_lo, s19
	s_cbranch_execnz .LBB0_146
.LBB0_147:                              ;   in Loop: Header=BB0_86 Depth=2
	s_or_b32 exec_lo, exec_lo, s18
	global_load_b64 v[16:17], v9, s[10:11] offset:16
	s_mov_b32 s19, exec_lo
	s_mov_b32 s18, exec_lo
	v_mbcnt_lo_u32_b32 v8, s19, 0
	s_wait_xcnt 0x0
	s_delay_alu instid0(VALU_DEP_1)
	v_cmpx_eq_u32_e32 0, v8
	s_cbranch_execz .LBB0_149
; %bb.148:                              ;   in Loop: Header=BB0_86 Depth=2
	s_bcnt1_i32_b32 s19, s19
	s_delay_alu instid0(SALU_CYCLE_1)
	v_mov_b32_e32 v8, s19
	global_wb scope:SCOPE_SYS
	s_wait_loadcnt 0x0
	s_wait_storecnt 0x0
	global_atomic_add_u64 v[16:17], v[8:9], off offset:8 scope:SCOPE_SYS
.LBB0_149:                              ;   in Loop: Header=BB0_86 Depth=2
	s_wait_xcnt 0x0
	s_or_b32 exec_lo, exec_lo, s18
	s_wait_loadcnt 0x0
	global_load_b64 v[18:19], v[16:17], off offset:16
	s_wait_loadcnt 0x0
	v_cmp_eq_u64_e32 vcc_lo, 0, v[18:19]
	s_cbranch_vccnz .LBB0_151
; %bb.150:                              ;   in Loop: Header=BB0_86 Depth=2
	global_load_b32 v8, v[16:17], off offset:24
	s_wait_loadcnt 0x0
	v_readfirstlane_b32 s18, v8
	global_wb scope:SCOPE_SYS
	s_wait_storecnt 0x0
	s_wait_xcnt 0x0
	global_store_b64 v[18:19], v[8:9], off scope:SCOPE_SYS
	s_and_b32 m0, s18, 0xffffff
	s_sendmsg sendmsg(MSG_INTERRUPT)
.LBB0_151:                              ;   in Loop: Header=BB0_86 Depth=2
	s_wait_xcnt 0x0
	s_or_b32 exec_lo, exec_lo, s5
	v_mov_b32_e32 v37, v9
	s_delay_alu instid0(VALU_DEP_1)
	v_add_nc_u64_e32 v[16:17], v[34:35], v[36:37]
	s_branch .LBB0_155
.LBB0_152:                              ;   in Loop: Header=BB0_155 Depth=3
	s_wait_xcnt 0x0
	s_or_b32 exec_lo, exec_lo, s5
	s_delay_alu instid0(VALU_DEP_1)
	v_readfirstlane_b32 s5, v8
	s_cmp_eq_u32 s5, 0
	s_cbranch_scc1 .LBB0_154
; %bb.153:                              ;   in Loop: Header=BB0_155 Depth=3
	s_sleep 1
	s_cbranch_execnz .LBB0_155
	s_branch .LBB0_157
.LBB0_154:                              ;   in Loop: Header=BB0_86 Depth=2
	s_branch .LBB0_157
.LBB0_155:                              ;   Parent Loop BB0_39 Depth=1
                                        ;     Parent Loop BB0_86 Depth=2
                                        ; =>    This Inner Loop Header: Depth=3
	v_mov_b32_e32 v8, 1
	s_and_saveexec_b32 s5, s1
	s_cbranch_execz .LBB0_152
; %bb.156:                              ;   in Loop: Header=BB0_155 Depth=3
	global_load_b32 v8, v[38:39], off offset:20 scope:SCOPE_SYS
	s_wait_loadcnt 0x0
	global_inv scope:SCOPE_SYS
	v_and_b32_e32 v8, 1, v8
	s_branch .LBB0_152
.LBB0_157:                              ;   in Loop: Header=BB0_86 Depth=2
	global_load_b128 v[16:19], v[16:17], off
	s_wait_xcnt 0x0
	s_and_saveexec_b32 s5, s1
	s_cbranch_execz .LBB0_85
; %bb.158:                              ;   in Loop: Header=BB0_86 Depth=2
	s_wait_loadcnt 0x0
	s_clause 0x2
	global_load_b64 v[18:19], v9, s[10:11] offset:40
	global_load_b64 v[26:27], v9, s[10:11] offset:24 scope:SCOPE_SYS
	global_load_b64 v[20:21], v9, s[10:11]
	s_wait_loadcnt 0x2
	v_readfirstlane_b32 s18, v18
	v_readfirstlane_b32 s19, v19
	s_add_nc_u64 s[20:21], s[18:19], 1
	s_delay_alu instid0(SALU_CYCLE_1) | instskip(NEXT) | instid1(SALU_CYCLE_1)
	s_add_nc_u64 s[16:17], s[20:21], s[16:17]
	s_cmp_eq_u64 s[16:17], 0
	s_cselect_b32 s17, s21, s17
	s_cselect_b32 s16, s20, s16
	s_delay_alu instid0(SALU_CYCLE_1) | instskip(SKIP_1) | instid1(SALU_CYCLE_1)
	v_dual_mov_b32 v25, s17 :: v_dual_mov_b32 v24, s16
	s_and_b64 s[18:19], s[16:17], s[18:19]
	s_mul_u64 s[18:19], s[18:19], 24
	s_wait_loadcnt 0x0
	v_add_nc_u64_e32 v[22:23], s[18:19], v[20:21]
	global_store_b64 v[22:23], v[26:27], off
	global_wb scope:SCOPE_SYS
	s_wait_storecnt 0x0
	s_wait_xcnt 0x0
	global_atomic_cmpswap_b64 v[20:21], v9, v[24:27], s[10:11] offset:24 th:TH_ATOMIC_RETURN scope:SCOPE_SYS
	s_wait_loadcnt 0x0
	v_cmp_ne_u64_e32 vcc_lo, v[20:21], v[26:27]
	s_and_b32 exec_lo, exec_lo, vcc_lo
	s_cbranch_execz .LBB0_85
; %bb.159:                              ;   in Loop: Header=BB0_86 Depth=2
	s_mov_b32 s1, 0
.LBB0_160:                              ;   Parent Loop BB0_39 Depth=1
                                        ;     Parent Loop BB0_86 Depth=2
                                        ; =>    This Inner Loop Header: Depth=3
	v_dual_mov_b32 v18, s16 :: v_dual_mov_b32 v19, s17
	s_sleep 1
	global_store_b64 v[22:23], v[20:21], off
	global_wb scope:SCOPE_SYS
	s_wait_storecnt 0x0
	s_wait_xcnt 0x0
	global_atomic_cmpswap_b64 v[18:19], v9, v[18:21], s[10:11] offset:24 th:TH_ATOMIC_RETURN scope:SCOPE_SYS
	s_wait_loadcnt 0x0
	v_cmp_eq_u64_e32 vcc_lo, v[18:19], v[20:21]
	v_mov_b64_e32 v[20:21], v[18:19]
	s_or_b32 s1, vcc_lo, s1
	s_delay_alu instid0(SALU_CYCLE_1)
	s_and_not1_b32 exec_lo, exec_lo, s1
	s_cbranch_execnz .LBB0_160
	s_branch .LBB0_85
.LBB0_161:                              ;   in Loop: Header=BB0_39 Depth=1
	s_branch .LBB0_190
.LBB0_162:                              ;   in Loop: Header=BB0_39 Depth=1
	s_cbranch_execz .LBB0_190
; %bb.163:                              ;   in Loop: Header=BB0_39 Depth=1
	v_readfirstlane_b32 s1, v50
	s_wait_loadcnt 0x0
	v_mov_b64_e32 v[16:17], 0
	s_delay_alu instid0(VALU_DEP_2)
	v_cmp_eq_u32_e64 s1, s1, v50
	s_and_saveexec_b32 s5, s1
	s_cbranch_execz .LBB0_169
; %bb.164:                              ;   in Loop: Header=BB0_39 Depth=1
	global_load_b64 v[18:19], v9, s[10:11] offset:24 scope:SCOPE_SYS
	s_wait_loadcnt 0x0
	global_inv scope:SCOPE_SYS
	s_clause 0x1
	global_load_b64 v[16:17], v9, s[10:11] offset:40
	global_load_b64 v[20:21], v9, s[10:11]
	s_mov_b32 s6, exec_lo
	s_wait_loadcnt 0x1
	v_and_b32_e32 v16, v16, v18
	v_and_b32_e32 v17, v17, v19
	s_delay_alu instid0(VALU_DEP_1) | instskip(SKIP_1) | instid1(VALU_DEP_1)
	v_mul_u64_e32 v[16:17], 24, v[16:17]
	s_wait_loadcnt 0x0
	v_add_nc_u64_e32 v[16:17], v[20:21], v[16:17]
	global_load_b64 v[16:17], v[16:17], off scope:SCOPE_SYS
	s_wait_xcnt 0x0
	s_wait_loadcnt 0x0
	global_atomic_cmpswap_b64 v[16:17], v9, v[16:19], s[10:11] offset:24 th:TH_ATOMIC_RETURN scope:SCOPE_SYS
	s_wait_loadcnt 0x0
	global_inv scope:SCOPE_SYS
	s_wait_xcnt 0x0
	v_cmpx_ne_u64_e64 v[16:17], v[18:19]
	s_cbranch_execz .LBB0_168
; %bb.165:                              ;   in Loop: Header=BB0_39 Depth=1
	s_mov_b32 s7, 0
.LBB0_166:                              ;   Parent Loop BB0_39 Depth=1
                                        ; =>  This Inner Loop Header: Depth=2
	s_sleep 1
	s_clause 0x1
	global_load_b64 v[20:21], v9, s[10:11] offset:40
	global_load_b64 v[22:23], v9, s[10:11]
	v_mov_b64_e32 v[18:19], v[16:17]
	s_wait_loadcnt 0x1
	s_delay_alu instid0(VALU_DEP_1) | instskip(SKIP_1) | instid1(VALU_DEP_1)
	v_and_b32_e32 v8, v20, v18
	s_wait_loadcnt 0x0
	v_mad_nc_u64_u32 v[16:17], v8, 24, v[22:23]
	s_delay_alu instid0(VALU_DEP_3) | instskip(NEXT) | instid1(VALU_DEP_1)
	v_and_b32_e32 v8, v21, v19
	v_mad_u32 v17, v8, 24, v17
	global_load_b64 v[16:17], v[16:17], off scope:SCOPE_SYS
	s_wait_xcnt 0x0
	s_wait_loadcnt 0x0
	global_atomic_cmpswap_b64 v[16:17], v9, v[16:19], s[10:11] offset:24 th:TH_ATOMIC_RETURN scope:SCOPE_SYS
	s_wait_loadcnt 0x0
	global_inv scope:SCOPE_SYS
	v_cmp_eq_u64_e32 vcc_lo, v[16:17], v[18:19]
	s_or_b32 s7, vcc_lo, s7
	s_wait_xcnt 0x0
	s_and_not1_b32 exec_lo, exec_lo, s7
	s_cbranch_execnz .LBB0_166
; %bb.167:                              ;   in Loop: Header=BB0_39 Depth=1
	s_or_b32 exec_lo, exec_lo, s7
.LBB0_168:                              ;   in Loop: Header=BB0_39 Depth=1
	s_delay_alu instid0(SALU_CYCLE_1)
	s_or_b32 exec_lo, exec_lo, s6
.LBB0_169:                              ;   in Loop: Header=BB0_39 Depth=1
	s_delay_alu instid0(SALU_CYCLE_1)
	s_or_b32 exec_lo, exec_lo, s5
	s_clause 0x1
	global_load_b64 v[22:23], v9, s[10:11] offset:40
	global_load_b128 v[18:21], v9, s[10:11]
	v_readfirstlane_b32 s12, v16
	v_readfirstlane_b32 s13, v17
	s_mov_b32 s5, exec_lo
	s_wait_loadcnt 0x1
	v_and_b32_e32 v16, s12, v22
	v_and_b32_e32 v17, s13, v23
	s_delay_alu instid0(VALU_DEP_1) | instskip(SKIP_1) | instid1(VALU_DEP_1)
	v_mul_u64_e32 v[22:23], 24, v[16:17]
	s_wait_loadcnt 0x0
	v_add_nc_u64_e32 v[22:23], v[18:19], v[22:23]
	s_wait_xcnt 0x0
	s_and_saveexec_b32 s6, s1
	s_cbranch_execz .LBB0_171
; %bb.170:                              ;   in Loop: Header=BB0_39 Depth=1
	v_mov_b32_e32 v8, s5
	global_store_b128 v[22:23], v[8:11], off offset:8
.LBB0_171:                              ;   in Loop: Header=BB0_39 Depth=1
	s_wait_xcnt 0x0
	s_or_b32 exec_lo, exec_lo, s6
	v_lshlrev_b64_e32 v[16:17], 12, v[16:17]
	s_mov_b32 s6, s4
	s_mov_b32 s7, s4
	s_mov_b32 s5, s4
	v_mov_b64_e32 v[26:27], s[6:7]
	v_mov_b64_e32 v[24:25], s[4:5]
	v_and_or_b32 v14, 0xffffff1d, v14, 34
	v_add_nc_u64_e32 v[20:21], v[20:21], v[16:17]
	v_dual_mov_b32 v16, v9 :: v_dual_mov_b32 v17, v9
	s_delay_alu instid0(VALU_DEP_2) | instskip(NEXT) | instid1(VALU_DEP_3)
	v_readfirstlane_b32 s14, v20
	v_readfirstlane_b32 s15, v21
	s_clause 0x3
	global_store_b128 v36, v[14:17], s[14:15]
	global_store_b128 v36, v[24:27], s[14:15] offset:16
	global_store_b128 v36, v[24:27], s[14:15] offset:32
	;; [unrolled: 1-line block ×3, first 2 shown]
	s_wait_xcnt 0x0
	s_and_saveexec_b32 s5, s1
	s_cbranch_execz .LBB0_179
; %bb.172:                              ;   in Loop: Header=BB0_39 Depth=1
	s_clause 0x1
	global_load_b64 v[26:27], v9, s[10:11] offset:32 scope:SCOPE_SYS
	global_load_b64 v[14:15], v9, s[10:11] offset:40
	s_mov_b32 s6, exec_lo
	v_dual_mov_b32 v24, s12 :: v_dual_mov_b32 v25, s13
	s_wait_loadcnt 0x0
	v_and_b32_e32 v15, s13, v15
	v_and_b32_e32 v14, s12, v14
	s_delay_alu instid0(VALU_DEP_1) | instskip(NEXT) | instid1(VALU_DEP_1)
	v_mul_u64_e32 v[14:15], 24, v[14:15]
	v_add_nc_u64_e32 v[18:19], v[18:19], v[14:15]
	global_store_b64 v[18:19], v[26:27], off
	global_wb scope:SCOPE_SYS
	s_wait_storecnt 0x0
	s_wait_xcnt 0x0
	global_atomic_cmpswap_b64 v[16:17], v9, v[24:27], s[10:11] offset:32 th:TH_ATOMIC_RETURN scope:SCOPE_SYS
	s_wait_loadcnt 0x0
	v_cmpx_ne_u64_e64 v[16:17], v[26:27]
	s_cbranch_execz .LBB0_175
; %bb.173:                              ;   in Loop: Header=BB0_39 Depth=1
	s_mov_b32 s7, 0
.LBB0_174:                              ;   Parent Loop BB0_39 Depth=1
                                        ; =>  This Inner Loop Header: Depth=2
	v_dual_mov_b32 v14, s12 :: v_dual_mov_b32 v15, s13
	s_sleep 1
	global_store_b64 v[18:19], v[16:17], off
	global_wb scope:SCOPE_SYS
	s_wait_storecnt 0x0
	s_wait_xcnt 0x0
	global_atomic_cmpswap_b64 v[14:15], v9, v[14:17], s[10:11] offset:32 th:TH_ATOMIC_RETURN scope:SCOPE_SYS
	s_wait_loadcnt 0x0
	v_cmp_eq_u64_e32 vcc_lo, v[14:15], v[16:17]
	v_mov_b64_e32 v[16:17], v[14:15]
	s_or_b32 s7, vcc_lo, s7
	s_delay_alu instid0(SALU_CYCLE_1)
	s_and_not1_b32 exec_lo, exec_lo, s7
	s_cbranch_execnz .LBB0_174
.LBB0_175:                              ;   in Loop: Header=BB0_39 Depth=1
	s_or_b32 exec_lo, exec_lo, s6
	global_load_b64 v[14:15], v9, s[10:11] offset:16
	s_mov_b32 s7, exec_lo
	s_mov_b32 s6, exec_lo
	v_mbcnt_lo_u32_b32 v8, s7, 0
	s_wait_xcnt 0x0
	s_delay_alu instid0(VALU_DEP_1)
	v_cmpx_eq_u32_e32 0, v8
	s_cbranch_execz .LBB0_177
; %bb.176:                              ;   in Loop: Header=BB0_39 Depth=1
	s_bcnt1_i32_b32 s7, s7
	s_delay_alu instid0(SALU_CYCLE_1)
	v_mov_b32_e32 v8, s7
	global_wb scope:SCOPE_SYS
	s_wait_loadcnt 0x0
	s_wait_storecnt 0x0
	global_atomic_add_u64 v[14:15], v[8:9], off offset:8 scope:SCOPE_SYS
.LBB0_177:                              ;   in Loop: Header=BB0_39 Depth=1
	s_wait_xcnt 0x0
	s_or_b32 exec_lo, exec_lo, s6
	s_wait_loadcnt 0x0
	global_load_b64 v[16:17], v[14:15], off offset:16
	s_wait_loadcnt 0x0
	v_cmp_eq_u64_e32 vcc_lo, 0, v[16:17]
	s_cbranch_vccnz .LBB0_179
; %bb.178:                              ;   in Loop: Header=BB0_39 Depth=1
	global_load_b32 v8, v[14:15], off offset:24
	s_wait_loadcnt 0x0
	v_readfirstlane_b32 s6, v8
	global_wb scope:SCOPE_SYS
	s_wait_storecnt 0x0
	s_wait_xcnt 0x0
	global_store_b64 v[16:17], v[8:9], off scope:SCOPE_SYS
	s_and_b32 m0, s6, 0xffffff
	s_sendmsg sendmsg(MSG_INTERRUPT)
.LBB0_179:                              ;   in Loop: Header=BB0_39 Depth=1
	s_wait_xcnt 0x0
	s_or_b32 exec_lo, exec_lo, s5
	s_branch .LBB0_183
.LBB0_180:                              ;   in Loop: Header=BB0_183 Depth=2
	s_wait_xcnt 0x0
	s_or_b32 exec_lo, exec_lo, s5
	s_delay_alu instid0(VALU_DEP_1)
	v_readfirstlane_b32 s5, v8
	s_cmp_eq_u32 s5, 0
	s_cbranch_scc1 .LBB0_182
; %bb.181:                              ;   in Loop: Header=BB0_183 Depth=2
	s_sleep 1
	s_cbranch_execnz .LBB0_183
	s_branch .LBB0_185
.LBB0_182:                              ;   in Loop: Header=BB0_39 Depth=1
	s_branch .LBB0_185
.LBB0_183:                              ;   Parent Loop BB0_39 Depth=1
                                        ; =>  This Inner Loop Header: Depth=2
	v_mov_b32_e32 v8, 1
	s_and_saveexec_b32 s5, s1
	s_cbranch_execz .LBB0_180
; %bb.184:                              ;   in Loop: Header=BB0_183 Depth=2
	global_load_b32 v8, v[22:23], off offset:20 scope:SCOPE_SYS
	s_wait_loadcnt 0x0
	global_inv scope:SCOPE_SYS
	v_and_b32_e32 v8, 1, v8
	s_branch .LBB0_180
.LBB0_185:                              ;   in Loop: Header=BB0_39 Depth=1
	s_and_saveexec_b32 s5, s1
	s_cbranch_execz .LBB0_189
; %bb.186:                              ;   in Loop: Header=BB0_39 Depth=1
	s_clause 0x2
	global_load_b64 v[14:15], v9, s[10:11] offset:40
	global_load_b64 v[22:23], v9, s[10:11] offset:24 scope:SCOPE_SYS
	global_load_b64 v[16:17], v9, s[10:11]
	s_wait_loadcnt 0x2
	v_readfirstlane_b32 s14, v14
	v_readfirstlane_b32 s15, v15
	s_add_nc_u64 s[6:7], s[14:15], 1
	s_delay_alu instid0(SALU_CYCLE_1) | instskip(NEXT) | instid1(SALU_CYCLE_1)
	s_add_nc_u64 s[12:13], s[6:7], s[12:13]
	s_cmp_eq_u64 s[12:13], 0
	s_cselect_b32 s7, s7, s13
	s_cselect_b32 s6, s6, s12
	s_delay_alu instid0(SALU_CYCLE_1) | instskip(SKIP_1) | instid1(SALU_CYCLE_1)
	v_dual_mov_b32 v21, s7 :: v_dual_mov_b32 v20, s6
	s_and_b64 s[12:13], s[6:7], s[14:15]
	s_mul_u64 s[12:13], s[12:13], 24
	s_wait_loadcnt 0x0
	v_add_nc_u64_e32 v[18:19], s[12:13], v[16:17]
	global_store_b64 v[18:19], v[22:23], off
	global_wb scope:SCOPE_SYS
	s_wait_storecnt 0x0
	s_wait_xcnt 0x0
	global_atomic_cmpswap_b64 v[16:17], v9, v[20:23], s[10:11] offset:24 th:TH_ATOMIC_RETURN scope:SCOPE_SYS
	s_wait_loadcnt 0x0
	v_cmp_ne_u64_e32 vcc_lo, v[16:17], v[22:23]
	s_and_b32 exec_lo, exec_lo, vcc_lo
	s_cbranch_execz .LBB0_189
; %bb.187:                              ;   in Loop: Header=BB0_39 Depth=1
	s_mov_b32 s1, 0
.LBB0_188:                              ;   Parent Loop BB0_39 Depth=1
                                        ; =>  This Inner Loop Header: Depth=2
	v_dual_mov_b32 v14, s6 :: v_dual_mov_b32 v15, s7
	s_sleep 1
	global_store_b64 v[18:19], v[16:17], off
	global_wb scope:SCOPE_SYS
	s_wait_storecnt 0x0
	s_wait_xcnt 0x0
	global_atomic_cmpswap_b64 v[14:15], v9, v[14:17], s[10:11] offset:24 th:TH_ATOMIC_RETURN scope:SCOPE_SYS
	s_wait_loadcnt 0x0
	v_cmp_eq_u64_e32 vcc_lo, v[14:15], v[16:17]
	v_mov_b64_e32 v[16:17], v[14:15]
	s_or_b32 s1, vcc_lo, s1
	s_delay_alu instid0(SALU_CYCLE_1)
	s_and_not1_b32 exec_lo, exec_lo, s1
	s_cbranch_execnz .LBB0_188
.LBB0_189:                              ;   in Loop: Header=BB0_39 Depth=1
	s_or_b32 exec_lo, exec_lo, s5
.LBB0_190:                              ;   in Loop: Header=BB0_39 Depth=1
	v_readfirstlane_b32 s1, v50
	s_wait_loadcnt 0x0
	v_mov_b64_e32 v[14:15], 0
	s_delay_alu instid0(VALU_DEP_2)
	v_cmp_eq_u32_e64 s1, s1, v50
	s_and_saveexec_b32 s5, s1
	s_cbranch_execz .LBB0_196
; %bb.191:                              ;   in Loop: Header=BB0_39 Depth=1
	global_load_b64 v[16:17], v9, s[10:11] offset:24 scope:SCOPE_SYS
	s_wait_loadcnt 0x0
	global_inv scope:SCOPE_SYS
	s_clause 0x1
	global_load_b64 v[14:15], v9, s[10:11] offset:40
	global_load_b64 v[18:19], v9, s[10:11]
	s_mov_b32 s6, exec_lo
	s_wait_loadcnt 0x1
	v_and_b32_e32 v14, v14, v16
	v_and_b32_e32 v15, v15, v17
	s_delay_alu instid0(VALU_DEP_1) | instskip(SKIP_1) | instid1(VALU_DEP_1)
	v_mul_u64_e32 v[14:15], 24, v[14:15]
	s_wait_loadcnt 0x0
	v_add_nc_u64_e32 v[14:15], v[18:19], v[14:15]
	global_load_b64 v[14:15], v[14:15], off scope:SCOPE_SYS
	s_wait_xcnt 0x0
	s_wait_loadcnt 0x0
	global_atomic_cmpswap_b64 v[14:15], v9, v[14:17], s[10:11] offset:24 th:TH_ATOMIC_RETURN scope:SCOPE_SYS
	s_wait_loadcnt 0x0
	global_inv scope:SCOPE_SYS
	s_wait_xcnt 0x0
	v_cmpx_ne_u64_e64 v[14:15], v[16:17]
	s_cbranch_execz .LBB0_195
; %bb.192:                              ;   in Loop: Header=BB0_39 Depth=1
	s_mov_b32 s7, 0
.LBB0_193:                              ;   Parent Loop BB0_39 Depth=1
                                        ; =>  This Inner Loop Header: Depth=2
	s_sleep 1
	s_clause 0x1
	global_load_b64 v[18:19], v9, s[10:11] offset:40
	global_load_b64 v[20:21], v9, s[10:11]
	v_mov_b64_e32 v[16:17], v[14:15]
	s_wait_loadcnt 0x1
	s_delay_alu instid0(VALU_DEP_1) | instskip(SKIP_1) | instid1(VALU_DEP_1)
	v_and_b32_e32 v8, v18, v16
	s_wait_loadcnt 0x0
	v_mad_nc_u64_u32 v[14:15], v8, 24, v[20:21]
	s_delay_alu instid0(VALU_DEP_3) | instskip(NEXT) | instid1(VALU_DEP_1)
	v_and_b32_e32 v8, v19, v17
	v_mad_u32 v15, v8, 24, v15
	global_load_b64 v[14:15], v[14:15], off scope:SCOPE_SYS
	s_wait_xcnt 0x0
	s_wait_loadcnt 0x0
	global_atomic_cmpswap_b64 v[14:15], v9, v[14:17], s[10:11] offset:24 th:TH_ATOMIC_RETURN scope:SCOPE_SYS
	s_wait_loadcnt 0x0
	global_inv scope:SCOPE_SYS
	v_cmp_eq_u64_e32 vcc_lo, v[14:15], v[16:17]
	s_or_b32 s7, vcc_lo, s7
	s_wait_xcnt 0x0
	s_and_not1_b32 exec_lo, exec_lo, s7
	s_cbranch_execnz .LBB0_193
; %bb.194:                              ;   in Loop: Header=BB0_39 Depth=1
	s_or_b32 exec_lo, exec_lo, s7
.LBB0_195:                              ;   in Loop: Header=BB0_39 Depth=1
	s_delay_alu instid0(SALU_CYCLE_1)
	s_or_b32 exec_lo, exec_lo, s6
.LBB0_196:                              ;   in Loop: Header=BB0_39 Depth=1
	s_delay_alu instid0(SALU_CYCLE_1)
	s_or_b32 exec_lo, exec_lo, s5
	s_clause 0x1
	global_load_b64 v[20:21], v9, s[10:11] offset:40
	global_load_b128 v[16:19], v9, s[10:11]
	v_readfirstlane_b32 s12, v14
	v_readfirstlane_b32 s13, v15
	s_mov_b32 s5, exec_lo
	s_wait_loadcnt 0x1
	v_and_b32_e32 v14, s12, v20
	v_and_b32_e32 v15, s13, v21
	s_delay_alu instid0(VALU_DEP_1) | instskip(SKIP_1) | instid1(VALU_DEP_1)
	v_mul_u64_e32 v[20:21], 24, v[14:15]
	s_wait_loadcnt 0x0
	v_add_nc_u64_e32 v[20:21], v[16:17], v[20:21]
	s_wait_xcnt 0x0
	s_and_saveexec_b32 s6, s1
	s_cbranch_execz .LBB0_198
; %bb.197:                              ;   in Loop: Header=BB0_39 Depth=1
	v_mov_b32_e32 v8, s5
	global_store_b128 v[20:21], v[8:11], off offset:8
.LBB0_198:                              ;   in Loop: Header=BB0_39 Depth=1
	s_wait_xcnt 0x0
	s_or_b32 exec_lo, exec_lo, s6
	v_lshlrev_b64_e32 v[14:15], 12, v[14:15]
	s_mov_b32 s6, s4
	s_mov_b32 s7, s4
	;; [unrolled: 1-line block ×3, first 2 shown]
	v_mov_b64_e32 v[24:25], s[6:7]
	v_mov_b64_e32 v[22:23], s[4:5]
	v_mov_b32_e32 v13, v9
	v_add_nc_u64_e32 v[18:19], v[18:19], v[14:15]
	v_dual_mov_b32 v14, v9 :: v_dual_mov_b32 v15, v9
	s_delay_alu instid0(VALU_DEP_2) | instskip(NEXT) | instid1(VALU_DEP_3)
	v_readfirstlane_b32 s14, v18
	v_readfirstlane_b32 s15, v19
	s_clause 0x3
	global_store_b128 v36, v[12:15], s[14:15]
	global_store_b128 v36, v[22:25], s[14:15] offset:16
	global_store_b128 v36, v[22:25], s[14:15] offset:32
	;; [unrolled: 1-line block ×3, first 2 shown]
	s_wait_xcnt 0x0
	s_and_saveexec_b32 s5, s1
	s_cbranch_execz .LBB0_206
; %bb.199:                              ;   in Loop: Header=BB0_39 Depth=1
	s_clause 0x1
	global_load_b64 v[26:27], v9, s[10:11] offset:32 scope:SCOPE_SYS
	global_load_b64 v[14:15], v9, s[10:11] offset:40
	s_mov_b32 s6, exec_lo
	v_dual_mov_b32 v24, s12 :: v_dual_mov_b32 v25, s13
	s_wait_loadcnt 0x0
	v_and_b32_e32 v15, s13, v15
	v_and_b32_e32 v14, s12, v14
	s_delay_alu instid0(VALU_DEP_1) | instskip(NEXT) | instid1(VALU_DEP_1)
	v_mul_u64_e32 v[14:15], 24, v[14:15]
	v_add_nc_u64_e32 v[22:23], v[16:17], v[14:15]
	global_store_b64 v[22:23], v[26:27], off
	global_wb scope:SCOPE_SYS
	s_wait_storecnt 0x0
	s_wait_xcnt 0x0
	global_atomic_cmpswap_b64 v[16:17], v9, v[24:27], s[10:11] offset:32 th:TH_ATOMIC_RETURN scope:SCOPE_SYS
	s_wait_loadcnt 0x0
	v_cmpx_ne_u64_e64 v[16:17], v[26:27]
	s_cbranch_execz .LBB0_202
; %bb.200:                              ;   in Loop: Header=BB0_39 Depth=1
	s_mov_b32 s7, 0
.LBB0_201:                              ;   Parent Loop BB0_39 Depth=1
                                        ; =>  This Inner Loop Header: Depth=2
	v_dual_mov_b32 v14, s12 :: v_dual_mov_b32 v15, s13
	s_sleep 1
	global_store_b64 v[22:23], v[16:17], off
	global_wb scope:SCOPE_SYS
	s_wait_storecnt 0x0
	s_wait_xcnt 0x0
	global_atomic_cmpswap_b64 v[14:15], v9, v[14:17], s[10:11] offset:32 th:TH_ATOMIC_RETURN scope:SCOPE_SYS
	s_wait_loadcnt 0x0
	v_cmp_eq_u64_e32 vcc_lo, v[14:15], v[16:17]
	v_mov_b64_e32 v[16:17], v[14:15]
	s_or_b32 s7, vcc_lo, s7
	s_delay_alu instid0(SALU_CYCLE_1)
	s_and_not1_b32 exec_lo, exec_lo, s7
	s_cbranch_execnz .LBB0_201
.LBB0_202:                              ;   in Loop: Header=BB0_39 Depth=1
	s_or_b32 exec_lo, exec_lo, s6
	global_load_b64 v[14:15], v9, s[10:11] offset:16
	s_mov_b32 s7, exec_lo
	s_mov_b32 s6, exec_lo
	v_mbcnt_lo_u32_b32 v8, s7, 0
	s_wait_xcnt 0x0
	s_delay_alu instid0(VALU_DEP_1)
	v_cmpx_eq_u32_e32 0, v8
	s_cbranch_execz .LBB0_204
; %bb.203:                              ;   in Loop: Header=BB0_39 Depth=1
	s_bcnt1_i32_b32 s7, s7
	s_delay_alu instid0(SALU_CYCLE_1)
	v_mov_b32_e32 v8, s7
	global_wb scope:SCOPE_SYS
	s_wait_loadcnt 0x0
	s_wait_storecnt 0x0
	global_atomic_add_u64 v[14:15], v[8:9], off offset:8 scope:SCOPE_SYS
.LBB0_204:                              ;   in Loop: Header=BB0_39 Depth=1
	s_wait_xcnt 0x0
	s_or_b32 exec_lo, exec_lo, s6
	s_wait_loadcnt 0x0
	global_load_b64 v[16:17], v[14:15], off offset:16
	s_wait_loadcnt 0x0
	v_cmp_eq_u64_e32 vcc_lo, 0, v[16:17]
	s_cbranch_vccnz .LBB0_206
; %bb.205:                              ;   in Loop: Header=BB0_39 Depth=1
	global_load_b32 v8, v[14:15], off offset:24
	s_wait_loadcnt 0x0
	v_readfirstlane_b32 s6, v8
	global_wb scope:SCOPE_SYS
	s_wait_storecnt 0x0
	s_wait_xcnt 0x0
	global_store_b64 v[16:17], v[8:9], off scope:SCOPE_SYS
	s_and_b32 m0, s6, 0xffffff
	s_sendmsg sendmsg(MSG_INTERRUPT)
.LBB0_206:                              ;   in Loop: Header=BB0_39 Depth=1
	s_wait_xcnt 0x0
	s_or_b32 exec_lo, exec_lo, s5
	v_mov_b32_e32 v37, v9
	s_delay_alu instid0(VALU_DEP_1)
	v_add_nc_u64_e32 v[14:15], v[18:19], v[36:37]
	s_branch .LBB0_210
.LBB0_207:                              ;   in Loop: Header=BB0_210 Depth=2
	s_wait_xcnt 0x0
	s_or_b32 exec_lo, exec_lo, s5
	s_delay_alu instid0(VALU_DEP_1)
	v_readfirstlane_b32 s5, v8
	s_cmp_eq_u32 s5, 0
	s_cbranch_scc1 .LBB0_209
; %bb.208:                              ;   in Loop: Header=BB0_210 Depth=2
	s_sleep 1
	s_cbranch_execnz .LBB0_210
	s_branch .LBB0_212
.LBB0_209:                              ;   in Loop: Header=BB0_39 Depth=1
	s_branch .LBB0_212
.LBB0_210:                              ;   Parent Loop BB0_39 Depth=1
                                        ; =>  This Inner Loop Header: Depth=2
	v_mov_b32_e32 v8, 1
	s_and_saveexec_b32 s5, s1
	s_cbranch_execz .LBB0_207
; %bb.211:                              ;   in Loop: Header=BB0_210 Depth=2
	global_load_b32 v8, v[20:21], off offset:20 scope:SCOPE_SYS
	s_wait_loadcnt 0x0
	global_inv scope:SCOPE_SYS
	v_and_b32_e32 v8, 1, v8
	s_branch .LBB0_207
.LBB0_212:                              ;   in Loop: Header=BB0_39 Depth=1
	global_load_b64 v[14:15], v[14:15], off
	s_wait_xcnt 0x0
	s_and_saveexec_b32 s5, s1
	s_cbranch_execz .LBB0_216
; %bb.213:                              ;   in Loop: Header=BB0_39 Depth=1
	s_clause 0x2
	global_load_b64 v[16:17], v9, s[10:11] offset:40
	global_load_b64 v[24:25], v9, s[10:11] offset:24 scope:SCOPE_SYS
	global_load_b64 v[18:19], v9, s[10:11]
	s_wait_loadcnt 0x2
	v_readfirstlane_b32 s14, v16
	v_readfirstlane_b32 s15, v17
	s_add_nc_u64 s[6:7], s[14:15], 1
	s_delay_alu instid0(SALU_CYCLE_1) | instskip(NEXT) | instid1(SALU_CYCLE_1)
	s_add_nc_u64 s[12:13], s[6:7], s[12:13]
	s_cmp_eq_u64 s[12:13], 0
	s_cselect_b32 s7, s7, s13
	s_cselect_b32 s6, s6, s12
	s_delay_alu instid0(SALU_CYCLE_1) | instskip(SKIP_1) | instid1(SALU_CYCLE_1)
	v_dual_mov_b32 v23, s7 :: v_dual_mov_b32 v22, s6
	s_and_b64 s[12:13], s[6:7], s[14:15]
	s_mul_u64 s[12:13], s[12:13], 24
	s_wait_loadcnt 0x0
	v_add_nc_u64_e32 v[20:21], s[12:13], v[18:19]
	global_store_b64 v[20:21], v[24:25], off
	global_wb scope:SCOPE_SYS
	s_wait_storecnt 0x0
	s_wait_xcnt 0x0
	global_atomic_cmpswap_b64 v[18:19], v9, v[22:25], s[10:11] offset:24 th:TH_ATOMIC_RETURN scope:SCOPE_SYS
	s_wait_loadcnt 0x0
	v_cmp_ne_u64_e32 vcc_lo, v[18:19], v[24:25]
	s_and_b32 exec_lo, exec_lo, vcc_lo
	s_cbranch_execz .LBB0_216
; %bb.214:                              ;   in Loop: Header=BB0_39 Depth=1
	s_mov_b32 s1, 0
.LBB0_215:                              ;   Parent Loop BB0_39 Depth=1
                                        ; =>  This Inner Loop Header: Depth=2
	v_dual_mov_b32 v16, s6 :: v_dual_mov_b32 v17, s7
	s_sleep 1
	global_store_b64 v[20:21], v[18:19], off
	global_wb scope:SCOPE_SYS
	s_wait_storecnt 0x0
	s_wait_xcnt 0x0
	global_atomic_cmpswap_b64 v[16:17], v9, v[16:19], s[10:11] offset:24 th:TH_ATOMIC_RETURN scope:SCOPE_SYS
	s_wait_loadcnt 0x0
	v_cmp_eq_u64_e32 vcc_lo, v[16:17], v[18:19]
	v_mov_b64_e32 v[18:19], v[16:17]
	s_or_b32 s1, vcc_lo, s1
	s_delay_alu instid0(SALU_CYCLE_1)
	s_and_not1_b32 exec_lo, exec_lo, s1
	s_cbranch_execnz .LBB0_215
.LBB0_216:                              ;   in Loop: Header=BB0_39 Depth=1
	s_or_b32 exec_lo, exec_lo, s5
	s_delay_alu instid0(SALU_CYCLE_1)
	s_and_b32 vcc_lo, exec_lo, s22
	s_cbranch_vccz .LBB0_295
; %bb.217:                              ;   in Loop: Header=BB0_39 Depth=1
	s_wait_loadcnt 0x0
	v_dual_mov_b32 v17, v15 :: v_dual_bitop2_b32 v16, -3, v14 bitop3:0x40
	s_mov_b64 s[12:13], 39
	s_get_pc_i64 s[6:7]
	s_add_nc_u64 s[6:7], s[6:7], .str.2@rel64+4
	s_branch .LBB0_219
.LBB0_218:                              ;   in Loop: Header=BB0_219 Depth=2
	s_or_b32 exec_lo, exec_lo, s5
	s_sub_nc_u64 s[12:13], s[12:13], s[14:15]
	s_add_nc_u64 s[6:7], s[6:7], s[14:15]
	s_cmp_lg_u64 s[12:13], 0
	s_cbranch_scc0 .LBB0_294
.LBB0_219:                              ;   Parent Loop BB0_39 Depth=1
                                        ; =>  This Loop Header: Depth=2
                                        ;       Child Loop BB0_222 Depth 3
                                        ;       Child Loop BB0_229 Depth 3
	;; [unrolled: 1-line block ×11, first 2 shown]
	s_wait_loadcnt 0x0
	v_min_u64 v[18:19], s[12:13], 56
	v_cmp_gt_u64_e64 s1, s[12:13], 7
	s_and_b32 vcc_lo, exec_lo, s1
	v_readfirstlane_b32 s14, v18
	v_readfirstlane_b32 s15, v19
	s_cbranch_vccnz .LBB0_224
; %bb.220:                              ;   in Loop: Header=BB0_219 Depth=2
	v_mov_b64_e32 v[18:19], 0
	s_cmp_eq_u64 s[12:13], 0
	s_cbranch_scc1 .LBB0_223
; %bb.221:                              ;   in Loop: Header=BB0_219 Depth=2
	s_mov_b64 s[16:17], 0
	s_mov_b64 s[18:19], 0
.LBB0_222:                              ;   Parent Loop BB0_39 Depth=1
                                        ;     Parent Loop BB0_219 Depth=2
                                        ; =>    This Inner Loop Header: Depth=3
	s_wait_xcnt 0x0
	s_add_nc_u64 s[20:21], s[6:7], s[18:19]
	s_add_nc_u64 s[18:19], s[18:19], 1
	global_load_u8 v8, v9, s[20:21]
	s_cmp_lg_u32 s14, s18
	s_wait_loadcnt 0x0
	v_and_b32_e32 v8, 0xffff, v8
	s_delay_alu instid0(VALU_DEP_1) | instskip(SKIP_1) | instid1(VALU_DEP_1)
	v_lshlrev_b64_e32 v[20:21], s16, v[8:9]
	s_add_nc_u64 s[16:17], s[16:17], 8
	v_or_b32_e32 v18, v20, v18
	s_delay_alu instid0(VALU_DEP_2)
	v_or_b32_e32 v19, v21, v19
	s_cbranch_scc1 .LBB0_222
.LBB0_223:                              ;   in Loop: Header=BB0_219 Depth=2
	s_mov_b64 s[16:17], s[6:7]
	s_mov_b32 s1, 0
	s_cbranch_execz .LBB0_225
	s_branch .LBB0_226
.LBB0_224:                              ;   in Loop: Header=BB0_219 Depth=2
	s_add_nc_u64 s[16:17], s[6:7], 8
	s_mov_b32 s1, 0
.LBB0_225:                              ;   in Loop: Header=BB0_219 Depth=2
	global_load_b64 v[18:19], v9, s[6:7]
	s_add_co_i32 s1, s14, -8
.LBB0_226:                              ;   in Loop: Header=BB0_219 Depth=2
	s_delay_alu instid0(SALU_CYCLE_1)
	s_cmp_gt_u32 s1, 7
	s_cbranch_scc1 .LBB0_231
; %bb.227:                              ;   in Loop: Header=BB0_219 Depth=2
	v_mov_b64_e32 v[20:21], 0
	s_cmp_eq_u32 s1, 0
	s_cbranch_scc1 .LBB0_230
; %bb.228:                              ;   in Loop: Header=BB0_219 Depth=2
	s_mov_b64 s[18:19], 0
	s_wait_xcnt 0x0
	s_mov_b64 s[20:21], 0
.LBB0_229:                              ;   Parent Loop BB0_39 Depth=1
                                        ;     Parent Loop BB0_219 Depth=2
                                        ; =>    This Inner Loop Header: Depth=3
	s_wait_xcnt 0x0
	s_add_nc_u64 s[26:27], s[16:17], s[20:21]
	s_add_nc_u64 s[20:21], s[20:21], 1
	global_load_u8 v8, v9, s[26:27]
	s_cmp_lg_u32 s1, s20
	s_wait_loadcnt 0x0
	v_and_b32_e32 v8, 0xffff, v8
	s_delay_alu instid0(VALU_DEP_1) | instskip(SKIP_1) | instid1(VALU_DEP_1)
	v_lshlrev_b64_e32 v[22:23], s18, v[8:9]
	s_add_nc_u64 s[18:19], s[18:19], 8
	v_or_b32_e32 v20, v22, v20
	s_delay_alu instid0(VALU_DEP_2)
	v_or_b32_e32 v21, v23, v21
	s_cbranch_scc1 .LBB0_229
.LBB0_230:                              ;   in Loop: Header=BB0_219 Depth=2
	s_mov_b64 s[18:19], s[16:17]
	s_mov_b32 s5, 0
	s_cbranch_execz .LBB0_232
	s_branch .LBB0_233
.LBB0_231:                              ;   in Loop: Header=BB0_219 Depth=2
	s_add_nc_u64 s[18:19], s[16:17], 8
                                        ; implicit-def: $vgpr20_vgpr21
	s_mov_b32 s5, 0
.LBB0_232:                              ;   in Loop: Header=BB0_219 Depth=2
	global_load_b64 v[20:21], v9, s[16:17]
	s_add_co_i32 s5, s1, -8
.LBB0_233:                              ;   in Loop: Header=BB0_219 Depth=2
	s_delay_alu instid0(SALU_CYCLE_1)
	s_cmp_gt_u32 s5, 7
	s_cbranch_scc1 .LBB0_238
; %bb.234:                              ;   in Loop: Header=BB0_219 Depth=2
	v_mov_b64_e32 v[22:23], 0
	s_cmp_eq_u32 s5, 0
	s_cbranch_scc1 .LBB0_237
; %bb.235:                              ;   in Loop: Header=BB0_219 Depth=2
	s_wait_xcnt 0x0
	s_mov_b64 s[16:17], 0
	s_mov_b64 s[20:21], 0
.LBB0_236:                              ;   Parent Loop BB0_39 Depth=1
                                        ;     Parent Loop BB0_219 Depth=2
                                        ; =>    This Inner Loop Header: Depth=3
	s_wait_xcnt 0x0
	s_add_nc_u64 s[26:27], s[18:19], s[20:21]
	s_add_nc_u64 s[20:21], s[20:21], 1
	global_load_u8 v8, v9, s[26:27]
	s_cmp_lg_u32 s5, s20
	s_wait_loadcnt 0x0
	v_and_b32_e32 v8, 0xffff, v8
	s_delay_alu instid0(VALU_DEP_1) | instskip(SKIP_1) | instid1(VALU_DEP_1)
	v_lshlrev_b64_e32 v[24:25], s16, v[8:9]
	s_add_nc_u64 s[16:17], s[16:17], 8
	v_or_b32_e32 v22, v24, v22
	s_delay_alu instid0(VALU_DEP_2)
	v_or_b32_e32 v23, v25, v23
	s_cbranch_scc1 .LBB0_236
.LBB0_237:                              ;   in Loop: Header=BB0_219 Depth=2
	s_wait_xcnt 0x0
	s_mov_b64 s[16:17], s[18:19]
	s_mov_b32 s1, 0
	s_cbranch_execz .LBB0_239
	s_branch .LBB0_240
.LBB0_238:                              ;   in Loop: Header=BB0_219 Depth=2
	s_wait_xcnt 0x0
	s_add_nc_u64 s[16:17], s[18:19], 8
	s_mov_b32 s1, 0
.LBB0_239:                              ;   in Loop: Header=BB0_219 Depth=2
	global_load_b64 v[22:23], v9, s[18:19]
	s_add_co_i32 s1, s5, -8
.LBB0_240:                              ;   in Loop: Header=BB0_219 Depth=2
	s_delay_alu instid0(SALU_CYCLE_1)
	s_cmp_gt_u32 s1, 7
	s_cbranch_scc1 .LBB0_245
; %bb.241:                              ;   in Loop: Header=BB0_219 Depth=2
	v_mov_b64_e32 v[24:25], 0
	s_cmp_eq_u32 s1, 0
	s_cbranch_scc1 .LBB0_244
; %bb.242:                              ;   in Loop: Header=BB0_219 Depth=2
	s_wait_xcnt 0x0
	s_mov_b64 s[18:19], 0
	s_mov_b64 s[20:21], 0
.LBB0_243:                              ;   Parent Loop BB0_39 Depth=1
                                        ;     Parent Loop BB0_219 Depth=2
                                        ; =>    This Inner Loop Header: Depth=3
	s_wait_xcnt 0x0
	s_add_nc_u64 s[26:27], s[16:17], s[20:21]
	s_add_nc_u64 s[20:21], s[20:21], 1
	global_load_u8 v8, v9, s[26:27]
	s_cmp_lg_u32 s1, s20
	s_wait_loadcnt 0x0
	v_and_b32_e32 v8, 0xffff, v8
	s_delay_alu instid0(VALU_DEP_1) | instskip(SKIP_1) | instid1(VALU_DEP_1)
	v_lshlrev_b64_e32 v[26:27], s18, v[8:9]
	s_add_nc_u64 s[18:19], s[18:19], 8
	v_or_b32_e32 v24, v26, v24
	s_delay_alu instid0(VALU_DEP_2)
	v_or_b32_e32 v25, v27, v25
	s_cbranch_scc1 .LBB0_243
.LBB0_244:                              ;   in Loop: Header=BB0_219 Depth=2
	s_wait_xcnt 0x0
	s_mov_b64 s[18:19], s[16:17]
	s_mov_b32 s5, 0
	s_cbranch_execz .LBB0_246
	s_branch .LBB0_247
.LBB0_245:                              ;   in Loop: Header=BB0_219 Depth=2
	s_wait_xcnt 0x0
	s_add_nc_u64 s[18:19], s[16:17], 8
                                        ; implicit-def: $vgpr24_vgpr25
	s_mov_b32 s5, 0
.LBB0_246:                              ;   in Loop: Header=BB0_219 Depth=2
	global_load_b64 v[24:25], v9, s[16:17]
	s_add_co_i32 s5, s1, -8
.LBB0_247:                              ;   in Loop: Header=BB0_219 Depth=2
	s_delay_alu instid0(SALU_CYCLE_1)
	s_cmp_gt_u32 s5, 7
	s_cbranch_scc1 .LBB0_252
; %bb.248:                              ;   in Loop: Header=BB0_219 Depth=2
	v_mov_b64_e32 v[26:27], 0
	s_cmp_eq_u32 s5, 0
	s_cbranch_scc1 .LBB0_251
; %bb.249:                              ;   in Loop: Header=BB0_219 Depth=2
	s_wait_xcnt 0x0
	s_mov_b64 s[16:17], 0
	s_mov_b64 s[20:21], 0
.LBB0_250:                              ;   Parent Loop BB0_39 Depth=1
                                        ;     Parent Loop BB0_219 Depth=2
                                        ; =>    This Inner Loop Header: Depth=3
	s_wait_xcnt 0x0
	s_add_nc_u64 s[26:27], s[18:19], s[20:21]
	s_add_nc_u64 s[20:21], s[20:21], 1
	global_load_u8 v8, v9, s[26:27]
	s_cmp_lg_u32 s5, s20
	s_wait_loadcnt 0x0
	v_and_b32_e32 v8, 0xffff, v8
	s_delay_alu instid0(VALU_DEP_1) | instskip(SKIP_1) | instid1(VALU_DEP_1)
	v_lshlrev_b64_e32 v[28:29], s16, v[8:9]
	s_add_nc_u64 s[16:17], s[16:17], 8
	v_or_b32_e32 v26, v28, v26
	s_delay_alu instid0(VALU_DEP_2)
	v_or_b32_e32 v27, v29, v27
	s_cbranch_scc1 .LBB0_250
.LBB0_251:                              ;   in Loop: Header=BB0_219 Depth=2
	s_wait_xcnt 0x0
	s_mov_b64 s[16:17], s[18:19]
	s_mov_b32 s1, 0
	s_cbranch_execz .LBB0_253
	s_branch .LBB0_254
.LBB0_252:                              ;   in Loop: Header=BB0_219 Depth=2
	s_wait_xcnt 0x0
	s_add_nc_u64 s[16:17], s[18:19], 8
	s_mov_b32 s1, 0
.LBB0_253:                              ;   in Loop: Header=BB0_219 Depth=2
	global_load_b64 v[26:27], v9, s[18:19]
	s_add_co_i32 s1, s5, -8
.LBB0_254:                              ;   in Loop: Header=BB0_219 Depth=2
	s_delay_alu instid0(SALU_CYCLE_1)
	s_cmp_gt_u32 s1, 7
	s_cbranch_scc1 .LBB0_259
; %bb.255:                              ;   in Loop: Header=BB0_219 Depth=2
	v_mov_b64_e32 v[28:29], 0
	s_cmp_eq_u32 s1, 0
	s_cbranch_scc1 .LBB0_258
; %bb.256:                              ;   in Loop: Header=BB0_219 Depth=2
	s_wait_xcnt 0x0
	s_mov_b64 s[18:19], 0
	s_mov_b64 s[20:21], 0
.LBB0_257:                              ;   Parent Loop BB0_39 Depth=1
                                        ;     Parent Loop BB0_219 Depth=2
                                        ; =>    This Inner Loop Header: Depth=3
	s_wait_xcnt 0x0
	s_add_nc_u64 s[26:27], s[16:17], s[20:21]
	s_add_nc_u64 s[20:21], s[20:21], 1
	global_load_u8 v8, v9, s[26:27]
	s_cmp_lg_u32 s1, s20
	s_wait_loadcnt 0x0
	v_and_b32_e32 v8, 0xffff, v8
	s_delay_alu instid0(VALU_DEP_1) | instskip(SKIP_1) | instid1(VALU_DEP_1)
	v_lshlrev_b64_e32 v[30:31], s18, v[8:9]
	s_add_nc_u64 s[18:19], s[18:19], 8
	v_or_b32_e32 v28, v30, v28
	s_delay_alu instid0(VALU_DEP_2)
	v_or_b32_e32 v29, v31, v29
	s_cbranch_scc1 .LBB0_257
.LBB0_258:                              ;   in Loop: Header=BB0_219 Depth=2
	s_wait_xcnt 0x0
	s_mov_b64 s[18:19], s[16:17]
	s_mov_b32 s5, 0
	s_cbranch_execz .LBB0_260
	s_branch .LBB0_261
.LBB0_259:                              ;   in Loop: Header=BB0_219 Depth=2
	s_wait_xcnt 0x0
	s_add_nc_u64 s[18:19], s[16:17], 8
                                        ; implicit-def: $vgpr28_vgpr29
	s_mov_b32 s5, 0
.LBB0_260:                              ;   in Loop: Header=BB0_219 Depth=2
	global_load_b64 v[28:29], v9, s[16:17]
	s_add_co_i32 s5, s1, -8
.LBB0_261:                              ;   in Loop: Header=BB0_219 Depth=2
	s_delay_alu instid0(SALU_CYCLE_1)
	s_cmp_gt_u32 s5, 7
	s_cbranch_scc1 .LBB0_266
; %bb.262:                              ;   in Loop: Header=BB0_219 Depth=2
	v_mov_b64_e32 v[30:31], 0
	s_cmp_eq_u32 s5, 0
	s_cbranch_scc1 .LBB0_265
; %bb.263:                              ;   in Loop: Header=BB0_219 Depth=2
	s_wait_xcnt 0x0
	s_mov_b64 s[16:17], 0
	s_mov_b64 s[20:21], s[18:19]
.LBB0_264:                              ;   Parent Loop BB0_39 Depth=1
                                        ;     Parent Loop BB0_219 Depth=2
                                        ; =>    This Inner Loop Header: Depth=3
	global_load_u8 v8, v9, s[20:21]
	s_add_co_i32 s5, s5, -1
	s_wait_xcnt 0x0
	s_add_nc_u64 s[20:21], s[20:21], 1
	s_cmp_lg_u32 s5, 0
	s_wait_loadcnt 0x0
	v_and_b32_e32 v8, 0xffff, v8
	s_delay_alu instid0(VALU_DEP_1) | instskip(SKIP_1) | instid1(VALU_DEP_1)
	v_lshlrev_b64_e32 v[32:33], s16, v[8:9]
	s_add_nc_u64 s[16:17], s[16:17], 8
	v_or_b32_e32 v30, v32, v30
	s_delay_alu instid0(VALU_DEP_2)
	v_or_b32_e32 v31, v33, v31
	s_cbranch_scc1 .LBB0_264
.LBB0_265:                              ;   in Loop: Header=BB0_219 Depth=2
	s_cbranch_execz .LBB0_267
	s_branch .LBB0_268
.LBB0_266:                              ;   in Loop: Header=BB0_219 Depth=2
.LBB0_267:                              ;   in Loop: Header=BB0_219 Depth=2
	global_load_b64 v[30:31], v9, s[18:19]
.LBB0_268:                              ;   in Loop: Header=BB0_219 Depth=2
	v_readfirstlane_b32 s1, v50
	v_mov_b64_e32 v[38:39], 0
	s_delay_alu instid0(VALU_DEP_2)
	v_cmp_eq_u32_e64 s1, s1, v50
	s_wait_xcnt 0x0
	s_and_saveexec_b32 s5, s1
	s_cbranch_execz .LBB0_274
; %bb.269:                              ;   in Loop: Header=BB0_219 Depth=2
	global_load_b64 v[34:35], v9, s[10:11] offset:24 scope:SCOPE_SYS
	s_wait_loadcnt 0x0
	global_inv scope:SCOPE_SYS
	s_clause 0x1
	global_load_b64 v[32:33], v9, s[10:11] offset:40
	global_load_b64 v[38:39], v9, s[10:11]
	s_mov_b32 s16, exec_lo
	s_wait_loadcnt 0x1
	v_and_b32_e32 v32, v32, v34
	v_and_b32_e32 v33, v33, v35
	s_delay_alu instid0(VALU_DEP_1) | instskip(SKIP_1) | instid1(VALU_DEP_1)
	v_mul_u64_e32 v[32:33], 24, v[32:33]
	s_wait_loadcnt 0x0
	v_add_nc_u64_e32 v[32:33], v[38:39], v[32:33]
	global_load_b64 v[32:33], v[32:33], off scope:SCOPE_SYS
	s_wait_xcnt 0x0
	s_wait_loadcnt 0x0
	global_atomic_cmpswap_b64 v[38:39], v9, v[32:35], s[10:11] offset:24 th:TH_ATOMIC_RETURN scope:SCOPE_SYS
	s_wait_loadcnt 0x0
	global_inv scope:SCOPE_SYS
	s_wait_xcnt 0x0
	v_cmpx_ne_u64_e64 v[38:39], v[34:35]
	s_cbranch_execz .LBB0_273
; %bb.270:                              ;   in Loop: Header=BB0_219 Depth=2
	s_mov_b32 s17, 0
.LBB0_271:                              ;   Parent Loop BB0_39 Depth=1
                                        ;     Parent Loop BB0_219 Depth=2
                                        ; =>    This Inner Loop Header: Depth=3
	s_sleep 1
	s_clause 0x1
	global_load_b64 v[32:33], v9, s[10:11] offset:40
	global_load_b64 v[48:49], v9, s[10:11]
	v_mov_b64_e32 v[34:35], v[38:39]
	s_wait_loadcnt 0x1
	s_delay_alu instid0(VALU_DEP_1) | instskip(SKIP_1) | instid1(VALU_DEP_1)
	v_and_b32_e32 v8, v32, v34
	s_wait_loadcnt 0x0
	v_mad_nc_u64_u32 v[38:39], v8, 24, v[48:49]
	s_delay_alu instid0(VALU_DEP_3) | instskip(NEXT) | instid1(VALU_DEP_1)
	v_and_b32_e32 v8, v33, v35
	v_mad_u32 v39, v8, 24, v39
	global_load_b64 v[32:33], v[38:39], off scope:SCOPE_SYS
	s_wait_xcnt 0x0
	s_wait_loadcnt 0x0
	global_atomic_cmpswap_b64 v[38:39], v9, v[32:35], s[10:11] offset:24 th:TH_ATOMIC_RETURN scope:SCOPE_SYS
	s_wait_loadcnt 0x0
	global_inv scope:SCOPE_SYS
	v_cmp_eq_u64_e32 vcc_lo, v[38:39], v[34:35]
	s_or_b32 s17, vcc_lo, s17
	s_wait_xcnt 0x0
	s_and_not1_b32 exec_lo, exec_lo, s17
	s_cbranch_execnz .LBB0_271
; %bb.272:                              ;   in Loop: Header=BB0_219 Depth=2
	s_or_b32 exec_lo, exec_lo, s17
.LBB0_273:                              ;   in Loop: Header=BB0_219 Depth=2
	s_delay_alu instid0(SALU_CYCLE_1)
	s_or_b32 exec_lo, exec_lo, s16
.LBB0_274:                              ;   in Loop: Header=BB0_219 Depth=2
	s_delay_alu instid0(SALU_CYCLE_1)
	s_or_b32 exec_lo, exec_lo, s5
	s_clause 0x1
	global_load_b64 v[48:49], v9, s[10:11] offset:40
	global_load_b128 v[32:35], v9, s[10:11]
	v_readfirstlane_b32 s16, v38
	v_readfirstlane_b32 s17, v39
	s_mov_b32 s5, exec_lo
	s_wait_loadcnt 0x1
	v_and_b32_e32 v48, s16, v48
	v_and_b32_e32 v49, s17, v49
	s_delay_alu instid0(VALU_DEP_1) | instskip(SKIP_1) | instid1(VALU_DEP_1)
	v_mul_u64_e32 v[38:39], 24, v[48:49]
	s_wait_loadcnt 0x0
	v_add_nc_u64_e32 v[38:39], v[32:33], v[38:39]
	s_wait_xcnt 0x0
	s_and_saveexec_b32 s18, s1
	s_cbranch_execz .LBB0_276
; %bb.275:                              ;   in Loop: Header=BB0_219 Depth=2
	v_mov_b32_e32 v8, s5
	global_store_b128 v[38:39], v[8:11], off offset:8
.LBB0_276:                              ;   in Loop: Header=BB0_219 Depth=2
	s_wait_xcnt 0x0
	s_or_b32 exec_lo, exec_lo, s18
	v_cmp_gt_u64_e64 s5, s[12:13], 56
	v_lshlrev_b64_e32 v[48:49], 12, v[48:49]
	v_and_b32_e32 v8, 0xffffff1f, v16
	s_and_b32 s5, s5, exec_lo
	s_delay_alu instid0(VALU_DEP_2) | instskip(SKIP_4) | instid1(VALU_DEP_2)
	v_add_nc_u64_e32 v[34:35], v[34:35], v[48:49]
	s_cselect_b32 s5, 0, 2
	s_lshl_b32 s18, s14, 2
	v_or_b32_e32 v8, s5, v8
	s_add_co_i32 s5, s18, 28
	v_readfirstlane_b32 s18, v34
	s_delay_alu instid0(VALU_DEP_3) | instskip(NEXT) | instid1(VALU_DEP_3)
	v_readfirstlane_b32 s19, v35
	v_and_or_b32 v16, 0x1e0, s5, v8
	s_clause 0x3
	global_store_b128 v36, v[16:19], s[18:19]
	global_store_b128 v36, v[20:23], s[18:19] offset:16
	global_store_b128 v36, v[24:27], s[18:19] offset:32
	;; [unrolled: 1-line block ×3, first 2 shown]
	s_wait_xcnt 0x0
	s_and_saveexec_b32 s5, s1
	s_cbranch_execz .LBB0_284
; %bb.277:                              ;   in Loop: Header=BB0_219 Depth=2
	s_clause 0x1
	global_load_b64 v[24:25], v9, s[10:11] offset:32 scope:SCOPE_SYS
	global_load_b64 v[16:17], v9, s[10:11] offset:40
	s_mov_b32 s18, exec_lo
	v_dual_mov_b32 v22, s16 :: v_dual_mov_b32 v23, s17
	s_wait_loadcnt 0x0
	v_and_b32_e32 v17, s17, v17
	v_and_b32_e32 v16, s16, v16
	s_delay_alu instid0(VALU_DEP_1) | instskip(NEXT) | instid1(VALU_DEP_1)
	v_mul_u64_e32 v[16:17], 24, v[16:17]
	v_add_nc_u64_e32 v[20:21], v[32:33], v[16:17]
	global_store_b64 v[20:21], v[24:25], off
	global_wb scope:SCOPE_SYS
	s_wait_storecnt 0x0
	s_wait_xcnt 0x0
	global_atomic_cmpswap_b64 v[18:19], v9, v[22:25], s[10:11] offset:32 th:TH_ATOMIC_RETURN scope:SCOPE_SYS
	s_wait_loadcnt 0x0
	v_cmpx_ne_u64_e64 v[18:19], v[24:25]
	s_cbranch_execz .LBB0_280
; %bb.278:                              ;   in Loop: Header=BB0_219 Depth=2
	s_mov_b32 s19, 0
.LBB0_279:                              ;   Parent Loop BB0_39 Depth=1
                                        ;     Parent Loop BB0_219 Depth=2
                                        ; =>    This Inner Loop Header: Depth=3
	v_dual_mov_b32 v16, s16 :: v_dual_mov_b32 v17, s17
	s_sleep 1
	global_store_b64 v[20:21], v[18:19], off
	global_wb scope:SCOPE_SYS
	s_wait_storecnt 0x0
	s_wait_xcnt 0x0
	global_atomic_cmpswap_b64 v[16:17], v9, v[16:19], s[10:11] offset:32 th:TH_ATOMIC_RETURN scope:SCOPE_SYS
	s_wait_loadcnt 0x0
	v_cmp_eq_u64_e32 vcc_lo, v[16:17], v[18:19]
	v_mov_b64_e32 v[18:19], v[16:17]
	s_or_b32 s19, vcc_lo, s19
	s_delay_alu instid0(SALU_CYCLE_1)
	s_and_not1_b32 exec_lo, exec_lo, s19
	s_cbranch_execnz .LBB0_279
.LBB0_280:                              ;   in Loop: Header=BB0_219 Depth=2
	s_or_b32 exec_lo, exec_lo, s18
	global_load_b64 v[16:17], v9, s[10:11] offset:16
	s_mov_b32 s19, exec_lo
	s_mov_b32 s18, exec_lo
	v_mbcnt_lo_u32_b32 v8, s19, 0
	s_wait_xcnt 0x0
	s_delay_alu instid0(VALU_DEP_1)
	v_cmpx_eq_u32_e32 0, v8
	s_cbranch_execz .LBB0_282
; %bb.281:                              ;   in Loop: Header=BB0_219 Depth=2
	s_bcnt1_i32_b32 s19, s19
	s_delay_alu instid0(SALU_CYCLE_1)
	v_mov_b32_e32 v8, s19
	global_wb scope:SCOPE_SYS
	s_wait_loadcnt 0x0
	s_wait_storecnt 0x0
	global_atomic_add_u64 v[16:17], v[8:9], off offset:8 scope:SCOPE_SYS
.LBB0_282:                              ;   in Loop: Header=BB0_219 Depth=2
	s_wait_xcnt 0x0
	s_or_b32 exec_lo, exec_lo, s18
	s_wait_loadcnt 0x0
	global_load_b64 v[18:19], v[16:17], off offset:16
	s_wait_loadcnt 0x0
	v_cmp_eq_u64_e32 vcc_lo, 0, v[18:19]
	s_cbranch_vccnz .LBB0_284
; %bb.283:                              ;   in Loop: Header=BB0_219 Depth=2
	global_load_b32 v8, v[16:17], off offset:24
	s_wait_loadcnt 0x0
	v_readfirstlane_b32 s18, v8
	global_wb scope:SCOPE_SYS
	s_wait_storecnt 0x0
	s_wait_xcnt 0x0
	global_store_b64 v[18:19], v[8:9], off scope:SCOPE_SYS
	s_and_b32 m0, s18, 0xffffff
	s_sendmsg sendmsg(MSG_INTERRUPT)
.LBB0_284:                              ;   in Loop: Header=BB0_219 Depth=2
	s_wait_xcnt 0x0
	s_or_b32 exec_lo, exec_lo, s5
	v_mov_b32_e32 v37, v9
	s_delay_alu instid0(VALU_DEP_1)
	v_add_nc_u64_e32 v[16:17], v[34:35], v[36:37]
	s_branch .LBB0_288
.LBB0_285:                              ;   in Loop: Header=BB0_288 Depth=3
	s_wait_xcnt 0x0
	s_or_b32 exec_lo, exec_lo, s5
	s_delay_alu instid0(VALU_DEP_1)
	v_readfirstlane_b32 s5, v8
	s_cmp_eq_u32 s5, 0
	s_cbranch_scc1 .LBB0_287
; %bb.286:                              ;   in Loop: Header=BB0_288 Depth=3
	s_sleep 1
	s_cbranch_execnz .LBB0_288
	s_branch .LBB0_290
.LBB0_287:                              ;   in Loop: Header=BB0_219 Depth=2
	s_branch .LBB0_290
.LBB0_288:                              ;   Parent Loop BB0_39 Depth=1
                                        ;     Parent Loop BB0_219 Depth=2
                                        ; =>    This Inner Loop Header: Depth=3
	v_mov_b32_e32 v8, 1
	s_and_saveexec_b32 s5, s1
	s_cbranch_execz .LBB0_285
; %bb.289:                              ;   in Loop: Header=BB0_288 Depth=3
	global_load_b32 v8, v[38:39], off offset:20 scope:SCOPE_SYS
	s_wait_loadcnt 0x0
	global_inv scope:SCOPE_SYS
	v_and_b32_e32 v8, 1, v8
	s_branch .LBB0_285
.LBB0_290:                              ;   in Loop: Header=BB0_219 Depth=2
	global_load_b128 v[16:19], v[16:17], off
	s_wait_xcnt 0x0
	s_and_saveexec_b32 s5, s1
	s_cbranch_execz .LBB0_218
; %bb.291:                              ;   in Loop: Header=BB0_219 Depth=2
	s_wait_loadcnt 0x0
	s_clause 0x2
	global_load_b64 v[18:19], v9, s[10:11] offset:40
	global_load_b64 v[26:27], v9, s[10:11] offset:24 scope:SCOPE_SYS
	global_load_b64 v[20:21], v9, s[10:11]
	s_wait_loadcnt 0x2
	v_readfirstlane_b32 s18, v18
	v_readfirstlane_b32 s19, v19
	s_add_nc_u64 s[20:21], s[18:19], 1
	s_delay_alu instid0(SALU_CYCLE_1) | instskip(NEXT) | instid1(SALU_CYCLE_1)
	s_add_nc_u64 s[16:17], s[20:21], s[16:17]
	s_cmp_eq_u64 s[16:17], 0
	s_cselect_b32 s17, s21, s17
	s_cselect_b32 s16, s20, s16
	s_delay_alu instid0(SALU_CYCLE_1) | instskip(SKIP_1) | instid1(SALU_CYCLE_1)
	v_dual_mov_b32 v25, s17 :: v_dual_mov_b32 v24, s16
	s_and_b64 s[18:19], s[16:17], s[18:19]
	s_mul_u64 s[18:19], s[18:19], 24
	s_wait_loadcnt 0x0
	v_add_nc_u64_e32 v[22:23], s[18:19], v[20:21]
	global_store_b64 v[22:23], v[26:27], off
	global_wb scope:SCOPE_SYS
	s_wait_storecnt 0x0
	s_wait_xcnt 0x0
	global_atomic_cmpswap_b64 v[20:21], v9, v[24:27], s[10:11] offset:24 th:TH_ATOMIC_RETURN scope:SCOPE_SYS
	s_wait_loadcnt 0x0
	v_cmp_ne_u64_e32 vcc_lo, v[20:21], v[26:27]
	s_and_b32 exec_lo, exec_lo, vcc_lo
	s_cbranch_execz .LBB0_218
; %bb.292:                              ;   in Loop: Header=BB0_219 Depth=2
	s_mov_b32 s1, 0
.LBB0_293:                              ;   Parent Loop BB0_39 Depth=1
                                        ;     Parent Loop BB0_219 Depth=2
                                        ; =>    This Inner Loop Header: Depth=3
	v_dual_mov_b32 v18, s16 :: v_dual_mov_b32 v19, s17
	s_sleep 1
	global_store_b64 v[22:23], v[20:21], off
	global_wb scope:SCOPE_SYS
	s_wait_storecnt 0x0
	s_wait_xcnt 0x0
	global_atomic_cmpswap_b64 v[18:19], v9, v[18:21], s[10:11] offset:24 th:TH_ATOMIC_RETURN scope:SCOPE_SYS
	s_wait_loadcnt 0x0
	v_cmp_eq_u64_e32 vcc_lo, v[18:19], v[20:21]
	v_mov_b64_e32 v[20:21], v[18:19]
	s_or_b32 s1, vcc_lo, s1
	s_delay_alu instid0(SALU_CYCLE_1)
	s_and_not1_b32 exec_lo, exec_lo, s1
	s_cbranch_execnz .LBB0_293
	s_branch .LBB0_218
.LBB0_294:                              ;   in Loop: Header=BB0_39 Depth=1
	s_branch .LBB0_323
.LBB0_295:                              ;   in Loop: Header=BB0_39 Depth=1
	s_cbranch_execz .LBB0_323
; %bb.296:                              ;   in Loop: Header=BB0_39 Depth=1
	v_readfirstlane_b32 s1, v50
	s_wait_loadcnt 0x0
	v_mov_b64_e32 v[16:17], 0
	s_delay_alu instid0(VALU_DEP_2)
	v_cmp_eq_u32_e64 s1, s1, v50
	s_and_saveexec_b32 s5, s1
	s_cbranch_execz .LBB0_302
; %bb.297:                              ;   in Loop: Header=BB0_39 Depth=1
	global_load_b64 v[18:19], v9, s[10:11] offset:24 scope:SCOPE_SYS
	s_wait_loadcnt 0x0
	global_inv scope:SCOPE_SYS
	s_clause 0x1
	global_load_b64 v[16:17], v9, s[10:11] offset:40
	global_load_b64 v[20:21], v9, s[10:11]
	s_mov_b32 s6, exec_lo
	s_wait_loadcnt 0x1
	v_and_b32_e32 v16, v16, v18
	v_and_b32_e32 v17, v17, v19
	s_delay_alu instid0(VALU_DEP_1) | instskip(SKIP_1) | instid1(VALU_DEP_1)
	v_mul_u64_e32 v[16:17], 24, v[16:17]
	s_wait_loadcnt 0x0
	v_add_nc_u64_e32 v[16:17], v[20:21], v[16:17]
	global_load_b64 v[16:17], v[16:17], off scope:SCOPE_SYS
	s_wait_xcnt 0x0
	s_wait_loadcnt 0x0
	global_atomic_cmpswap_b64 v[16:17], v9, v[16:19], s[10:11] offset:24 th:TH_ATOMIC_RETURN scope:SCOPE_SYS
	s_wait_loadcnt 0x0
	global_inv scope:SCOPE_SYS
	s_wait_xcnt 0x0
	v_cmpx_ne_u64_e64 v[16:17], v[18:19]
	s_cbranch_execz .LBB0_301
; %bb.298:                              ;   in Loop: Header=BB0_39 Depth=1
	s_mov_b32 s7, 0
.LBB0_299:                              ;   Parent Loop BB0_39 Depth=1
                                        ; =>  This Inner Loop Header: Depth=2
	s_sleep 1
	s_clause 0x1
	global_load_b64 v[20:21], v9, s[10:11] offset:40
	global_load_b64 v[22:23], v9, s[10:11]
	v_mov_b64_e32 v[18:19], v[16:17]
	s_wait_loadcnt 0x1
	s_delay_alu instid0(VALU_DEP_1) | instskip(SKIP_1) | instid1(VALU_DEP_1)
	v_and_b32_e32 v8, v20, v18
	s_wait_loadcnt 0x0
	v_mad_nc_u64_u32 v[16:17], v8, 24, v[22:23]
	s_delay_alu instid0(VALU_DEP_3) | instskip(NEXT) | instid1(VALU_DEP_1)
	v_and_b32_e32 v8, v21, v19
	v_mad_u32 v17, v8, 24, v17
	global_load_b64 v[16:17], v[16:17], off scope:SCOPE_SYS
	s_wait_xcnt 0x0
	s_wait_loadcnt 0x0
	global_atomic_cmpswap_b64 v[16:17], v9, v[16:19], s[10:11] offset:24 th:TH_ATOMIC_RETURN scope:SCOPE_SYS
	s_wait_loadcnt 0x0
	global_inv scope:SCOPE_SYS
	v_cmp_eq_u64_e32 vcc_lo, v[16:17], v[18:19]
	s_or_b32 s7, vcc_lo, s7
	s_wait_xcnt 0x0
	s_and_not1_b32 exec_lo, exec_lo, s7
	s_cbranch_execnz .LBB0_299
; %bb.300:                              ;   in Loop: Header=BB0_39 Depth=1
	s_or_b32 exec_lo, exec_lo, s7
.LBB0_301:                              ;   in Loop: Header=BB0_39 Depth=1
	s_delay_alu instid0(SALU_CYCLE_1)
	s_or_b32 exec_lo, exec_lo, s6
.LBB0_302:                              ;   in Loop: Header=BB0_39 Depth=1
	s_delay_alu instid0(SALU_CYCLE_1)
	s_or_b32 exec_lo, exec_lo, s5
	s_clause 0x1
	global_load_b64 v[22:23], v9, s[10:11] offset:40
	global_load_b128 v[18:21], v9, s[10:11]
	v_readfirstlane_b32 s12, v16
	v_readfirstlane_b32 s13, v17
	s_mov_b32 s5, exec_lo
	s_wait_loadcnt 0x1
	v_and_b32_e32 v16, s12, v22
	v_and_b32_e32 v17, s13, v23
	s_delay_alu instid0(VALU_DEP_1) | instskip(SKIP_1) | instid1(VALU_DEP_1)
	v_mul_u64_e32 v[22:23], 24, v[16:17]
	s_wait_loadcnt 0x0
	v_add_nc_u64_e32 v[22:23], v[18:19], v[22:23]
	s_wait_xcnt 0x0
	s_and_saveexec_b32 s6, s1
	s_cbranch_execz .LBB0_304
; %bb.303:                              ;   in Loop: Header=BB0_39 Depth=1
	v_mov_b32_e32 v8, s5
	global_store_b128 v[22:23], v[8:11], off offset:8
.LBB0_304:                              ;   in Loop: Header=BB0_39 Depth=1
	s_wait_xcnt 0x0
	s_or_b32 exec_lo, exec_lo, s6
	v_lshlrev_b64_e32 v[16:17], 12, v[16:17]
	s_mov_b32 s6, s4
	s_mov_b32 s7, s4
	;; [unrolled: 1-line block ×3, first 2 shown]
	v_mov_b64_e32 v[26:27], s[6:7]
	v_mov_b64_e32 v[24:25], s[4:5]
	v_and_or_b32 v14, 0xffffff1d, v14, 34
	v_add_nc_u64_e32 v[20:21], v[20:21], v[16:17]
	v_dual_mov_b32 v16, v9 :: v_dual_mov_b32 v17, v9
	s_delay_alu instid0(VALU_DEP_2) | instskip(NEXT) | instid1(VALU_DEP_3)
	v_readfirstlane_b32 s14, v20
	v_readfirstlane_b32 s15, v21
	s_clause 0x3
	global_store_b128 v36, v[14:17], s[14:15]
	global_store_b128 v36, v[24:27], s[14:15] offset:16
	global_store_b128 v36, v[24:27], s[14:15] offset:32
	;; [unrolled: 1-line block ×3, first 2 shown]
	s_wait_xcnt 0x0
	s_and_saveexec_b32 s5, s1
	s_cbranch_execz .LBB0_312
; %bb.305:                              ;   in Loop: Header=BB0_39 Depth=1
	s_clause 0x1
	global_load_b64 v[26:27], v9, s[10:11] offset:32 scope:SCOPE_SYS
	global_load_b64 v[14:15], v9, s[10:11] offset:40
	s_mov_b32 s6, exec_lo
	v_dual_mov_b32 v24, s12 :: v_dual_mov_b32 v25, s13
	s_wait_loadcnt 0x0
	v_and_b32_e32 v15, s13, v15
	v_and_b32_e32 v14, s12, v14
	s_delay_alu instid0(VALU_DEP_1) | instskip(NEXT) | instid1(VALU_DEP_1)
	v_mul_u64_e32 v[14:15], 24, v[14:15]
	v_add_nc_u64_e32 v[18:19], v[18:19], v[14:15]
	global_store_b64 v[18:19], v[26:27], off
	global_wb scope:SCOPE_SYS
	s_wait_storecnt 0x0
	s_wait_xcnt 0x0
	global_atomic_cmpswap_b64 v[16:17], v9, v[24:27], s[10:11] offset:32 th:TH_ATOMIC_RETURN scope:SCOPE_SYS
	s_wait_loadcnt 0x0
	v_cmpx_ne_u64_e64 v[16:17], v[26:27]
	s_cbranch_execz .LBB0_308
; %bb.306:                              ;   in Loop: Header=BB0_39 Depth=1
	s_mov_b32 s7, 0
.LBB0_307:                              ;   Parent Loop BB0_39 Depth=1
                                        ; =>  This Inner Loop Header: Depth=2
	v_dual_mov_b32 v14, s12 :: v_dual_mov_b32 v15, s13
	s_sleep 1
	global_store_b64 v[18:19], v[16:17], off
	global_wb scope:SCOPE_SYS
	s_wait_storecnt 0x0
	s_wait_xcnt 0x0
	global_atomic_cmpswap_b64 v[14:15], v9, v[14:17], s[10:11] offset:32 th:TH_ATOMIC_RETURN scope:SCOPE_SYS
	s_wait_loadcnt 0x0
	v_cmp_eq_u64_e32 vcc_lo, v[14:15], v[16:17]
	v_mov_b64_e32 v[16:17], v[14:15]
	s_or_b32 s7, vcc_lo, s7
	s_delay_alu instid0(SALU_CYCLE_1)
	s_and_not1_b32 exec_lo, exec_lo, s7
	s_cbranch_execnz .LBB0_307
.LBB0_308:                              ;   in Loop: Header=BB0_39 Depth=1
	s_or_b32 exec_lo, exec_lo, s6
	global_load_b64 v[14:15], v9, s[10:11] offset:16
	s_mov_b32 s7, exec_lo
	s_mov_b32 s6, exec_lo
	v_mbcnt_lo_u32_b32 v8, s7, 0
	s_wait_xcnt 0x0
	s_delay_alu instid0(VALU_DEP_1)
	v_cmpx_eq_u32_e32 0, v8
	s_cbranch_execz .LBB0_310
; %bb.309:                              ;   in Loop: Header=BB0_39 Depth=1
	s_bcnt1_i32_b32 s7, s7
	s_delay_alu instid0(SALU_CYCLE_1)
	v_mov_b32_e32 v8, s7
	global_wb scope:SCOPE_SYS
	s_wait_loadcnt 0x0
	s_wait_storecnt 0x0
	global_atomic_add_u64 v[14:15], v[8:9], off offset:8 scope:SCOPE_SYS
.LBB0_310:                              ;   in Loop: Header=BB0_39 Depth=1
	s_wait_xcnt 0x0
	s_or_b32 exec_lo, exec_lo, s6
	s_wait_loadcnt 0x0
	global_load_b64 v[16:17], v[14:15], off offset:16
	s_wait_loadcnt 0x0
	v_cmp_eq_u64_e32 vcc_lo, 0, v[16:17]
	s_cbranch_vccnz .LBB0_312
; %bb.311:                              ;   in Loop: Header=BB0_39 Depth=1
	global_load_b32 v8, v[14:15], off offset:24
	s_wait_loadcnt 0x0
	v_readfirstlane_b32 s6, v8
	global_wb scope:SCOPE_SYS
	s_wait_storecnt 0x0
	s_wait_xcnt 0x0
	global_store_b64 v[16:17], v[8:9], off scope:SCOPE_SYS
	s_and_b32 m0, s6, 0xffffff
	s_sendmsg sendmsg(MSG_INTERRUPT)
.LBB0_312:                              ;   in Loop: Header=BB0_39 Depth=1
	s_wait_xcnt 0x0
	s_or_b32 exec_lo, exec_lo, s5
	s_branch .LBB0_316
.LBB0_313:                              ;   in Loop: Header=BB0_316 Depth=2
	s_wait_xcnt 0x0
	s_or_b32 exec_lo, exec_lo, s5
	s_delay_alu instid0(VALU_DEP_1)
	v_readfirstlane_b32 s5, v8
	s_cmp_eq_u32 s5, 0
	s_cbranch_scc1 .LBB0_315
; %bb.314:                              ;   in Loop: Header=BB0_316 Depth=2
	s_sleep 1
	s_cbranch_execnz .LBB0_316
	s_branch .LBB0_318
.LBB0_315:                              ;   in Loop: Header=BB0_39 Depth=1
	s_branch .LBB0_318
.LBB0_316:                              ;   Parent Loop BB0_39 Depth=1
                                        ; =>  This Inner Loop Header: Depth=2
	v_mov_b32_e32 v8, 1
	s_and_saveexec_b32 s5, s1
	s_cbranch_execz .LBB0_313
; %bb.317:                              ;   in Loop: Header=BB0_316 Depth=2
	global_load_b32 v8, v[22:23], off offset:20 scope:SCOPE_SYS
	s_wait_loadcnt 0x0
	global_inv scope:SCOPE_SYS
	v_and_b32_e32 v8, 1, v8
	s_branch .LBB0_313
.LBB0_318:                              ;   in Loop: Header=BB0_39 Depth=1
	s_and_saveexec_b32 s5, s1
	s_cbranch_execz .LBB0_322
; %bb.319:                              ;   in Loop: Header=BB0_39 Depth=1
	s_clause 0x2
	global_load_b64 v[14:15], v9, s[10:11] offset:40
	global_load_b64 v[22:23], v9, s[10:11] offset:24 scope:SCOPE_SYS
	global_load_b64 v[16:17], v9, s[10:11]
	s_wait_loadcnt 0x2
	v_readfirstlane_b32 s14, v14
	v_readfirstlane_b32 s15, v15
	s_add_nc_u64 s[6:7], s[14:15], 1
	s_delay_alu instid0(SALU_CYCLE_1) | instskip(NEXT) | instid1(SALU_CYCLE_1)
	s_add_nc_u64 s[12:13], s[6:7], s[12:13]
	s_cmp_eq_u64 s[12:13], 0
	s_cselect_b32 s7, s7, s13
	s_cselect_b32 s6, s6, s12
	s_delay_alu instid0(SALU_CYCLE_1) | instskip(SKIP_1) | instid1(SALU_CYCLE_1)
	v_dual_mov_b32 v21, s7 :: v_dual_mov_b32 v20, s6
	s_and_b64 s[12:13], s[6:7], s[14:15]
	s_mul_u64 s[12:13], s[12:13], 24
	s_wait_loadcnt 0x0
	v_add_nc_u64_e32 v[18:19], s[12:13], v[16:17]
	global_store_b64 v[18:19], v[22:23], off
	global_wb scope:SCOPE_SYS
	s_wait_storecnt 0x0
	s_wait_xcnt 0x0
	global_atomic_cmpswap_b64 v[16:17], v9, v[20:23], s[10:11] offset:24 th:TH_ATOMIC_RETURN scope:SCOPE_SYS
	s_wait_loadcnt 0x0
	v_cmp_ne_u64_e32 vcc_lo, v[16:17], v[22:23]
	s_and_b32 exec_lo, exec_lo, vcc_lo
	s_cbranch_execz .LBB0_322
; %bb.320:                              ;   in Loop: Header=BB0_39 Depth=1
	s_mov_b32 s1, 0
.LBB0_321:                              ;   Parent Loop BB0_39 Depth=1
                                        ; =>  This Inner Loop Header: Depth=2
	v_dual_mov_b32 v14, s6 :: v_dual_mov_b32 v15, s7
	s_sleep 1
	global_store_b64 v[18:19], v[16:17], off
	global_wb scope:SCOPE_SYS
	s_wait_storecnt 0x0
	s_wait_xcnt 0x0
	global_atomic_cmpswap_b64 v[14:15], v9, v[14:17], s[10:11] offset:24 th:TH_ATOMIC_RETURN scope:SCOPE_SYS
	s_wait_loadcnt 0x0
	v_cmp_eq_u64_e32 vcc_lo, v[14:15], v[16:17]
	v_mov_b64_e32 v[16:17], v[14:15]
	s_or_b32 s1, vcc_lo, s1
	s_delay_alu instid0(SALU_CYCLE_1)
	s_and_not1_b32 exec_lo, exec_lo, s1
	s_cbranch_execnz .LBB0_321
.LBB0_322:                              ;   in Loop: Header=BB0_39 Depth=1
	s_or_b32 exec_lo, exec_lo, s5
.LBB0_323:                              ;   in Loop: Header=BB0_39 Depth=1
	v_readfirstlane_b32 s1, v50
	s_wait_loadcnt 0x0
	v_mov_b64_e32 v[14:15], 0
	s_delay_alu instid0(VALU_DEP_2)
	v_cmp_eq_u32_e64 s1, s1, v50
	s_and_saveexec_b32 s5, s1
	s_cbranch_execz .LBB0_329
; %bb.324:                              ;   in Loop: Header=BB0_39 Depth=1
	global_load_b64 v[16:17], v9, s[10:11] offset:24 scope:SCOPE_SYS
	s_wait_loadcnt 0x0
	global_inv scope:SCOPE_SYS
	s_clause 0x1
	global_load_b64 v[14:15], v9, s[10:11] offset:40
	global_load_b64 v[18:19], v9, s[10:11]
	s_mov_b32 s6, exec_lo
	s_wait_loadcnt 0x1
	v_and_b32_e32 v14, v14, v16
	v_and_b32_e32 v15, v15, v17
	s_delay_alu instid0(VALU_DEP_1) | instskip(SKIP_1) | instid1(VALU_DEP_1)
	v_mul_u64_e32 v[14:15], 24, v[14:15]
	s_wait_loadcnt 0x0
	v_add_nc_u64_e32 v[14:15], v[18:19], v[14:15]
	global_load_b64 v[14:15], v[14:15], off scope:SCOPE_SYS
	s_wait_xcnt 0x0
	s_wait_loadcnt 0x0
	global_atomic_cmpswap_b64 v[14:15], v9, v[14:17], s[10:11] offset:24 th:TH_ATOMIC_RETURN scope:SCOPE_SYS
	s_wait_loadcnt 0x0
	global_inv scope:SCOPE_SYS
	s_wait_xcnt 0x0
	v_cmpx_ne_u64_e64 v[14:15], v[16:17]
	s_cbranch_execz .LBB0_328
; %bb.325:                              ;   in Loop: Header=BB0_39 Depth=1
	s_mov_b32 s7, 0
.LBB0_326:                              ;   Parent Loop BB0_39 Depth=1
                                        ; =>  This Inner Loop Header: Depth=2
	s_sleep 1
	s_clause 0x1
	global_load_b64 v[18:19], v9, s[10:11] offset:40
	global_load_b64 v[20:21], v9, s[10:11]
	v_mov_b64_e32 v[16:17], v[14:15]
	s_wait_loadcnt 0x1
	s_delay_alu instid0(VALU_DEP_1) | instskip(SKIP_1) | instid1(VALU_DEP_1)
	v_and_b32_e32 v8, v18, v16
	s_wait_loadcnt 0x0
	v_mad_nc_u64_u32 v[14:15], v8, 24, v[20:21]
	s_delay_alu instid0(VALU_DEP_3) | instskip(NEXT) | instid1(VALU_DEP_1)
	v_and_b32_e32 v8, v19, v17
	v_mad_u32 v15, v8, 24, v15
	global_load_b64 v[14:15], v[14:15], off scope:SCOPE_SYS
	s_wait_xcnt 0x0
	s_wait_loadcnt 0x0
	global_atomic_cmpswap_b64 v[14:15], v9, v[14:17], s[10:11] offset:24 th:TH_ATOMIC_RETURN scope:SCOPE_SYS
	s_wait_loadcnt 0x0
	global_inv scope:SCOPE_SYS
	v_cmp_eq_u64_e32 vcc_lo, v[14:15], v[16:17]
	s_or_b32 s7, vcc_lo, s7
	s_wait_xcnt 0x0
	s_and_not1_b32 exec_lo, exec_lo, s7
	s_cbranch_execnz .LBB0_326
; %bb.327:                              ;   in Loop: Header=BB0_39 Depth=1
	s_or_b32 exec_lo, exec_lo, s7
.LBB0_328:                              ;   in Loop: Header=BB0_39 Depth=1
	s_delay_alu instid0(SALU_CYCLE_1)
	s_or_b32 exec_lo, exec_lo, s6
.LBB0_329:                              ;   in Loop: Header=BB0_39 Depth=1
	s_delay_alu instid0(SALU_CYCLE_1)
	s_or_b32 exec_lo, exec_lo, s5
	s_clause 0x1
	global_load_b64 v[20:21], v9, s[10:11] offset:40
	global_load_b128 v[16:19], v9, s[10:11]
	v_readfirstlane_b32 s12, v14
	v_readfirstlane_b32 s13, v15
	s_mov_b32 s5, exec_lo
	s_wait_loadcnt 0x1
	v_and_b32_e32 v14, s12, v20
	v_and_b32_e32 v15, s13, v21
	s_delay_alu instid0(VALU_DEP_1) | instskip(SKIP_1) | instid1(VALU_DEP_1)
	v_mul_u64_e32 v[20:21], 24, v[14:15]
	s_wait_loadcnt 0x0
	v_add_nc_u64_e32 v[20:21], v[16:17], v[20:21]
	s_wait_xcnt 0x0
	s_and_saveexec_b32 s6, s1
	s_cbranch_execz .LBB0_331
; %bb.330:                              ;   in Loop: Header=BB0_39 Depth=1
	v_mov_b32_e32 v8, s5
	global_store_b128 v[20:21], v[8:11], off offset:8
.LBB0_331:                              ;   in Loop: Header=BB0_39 Depth=1
	s_wait_xcnt 0x0
	s_or_b32 exec_lo, exec_lo, s6
	v_lshlrev_b64_e32 v[14:15], 12, v[14:15]
	s_mov_b32 s6, s4
	s_mov_b32 s7, s4
	;; [unrolled: 1-line block ×3, first 2 shown]
	v_mov_b64_e32 v[24:25], s[6:7]
	v_mov_b64_e32 v[22:23], s[4:5]
	v_mov_b32_e32 v13, v9
	v_add_nc_u64_e32 v[18:19], v[18:19], v[14:15]
	v_dual_mov_b32 v14, v9 :: v_dual_mov_b32 v15, v9
	s_delay_alu instid0(VALU_DEP_2) | instskip(NEXT) | instid1(VALU_DEP_3)
	v_readfirstlane_b32 s14, v18
	v_readfirstlane_b32 s15, v19
	s_clause 0x3
	global_store_b128 v36, v[12:15], s[14:15]
	global_store_b128 v36, v[22:25], s[14:15] offset:16
	global_store_b128 v36, v[22:25], s[14:15] offset:32
	;; [unrolled: 1-line block ×3, first 2 shown]
	s_wait_xcnt 0x0
	s_and_saveexec_b32 s5, s1
	s_cbranch_execz .LBB0_339
; %bb.332:                              ;   in Loop: Header=BB0_39 Depth=1
	s_clause 0x1
	global_load_b64 v[26:27], v9, s[10:11] offset:32 scope:SCOPE_SYS
	global_load_b64 v[14:15], v9, s[10:11] offset:40
	s_mov_b32 s6, exec_lo
	v_dual_mov_b32 v24, s12 :: v_dual_mov_b32 v25, s13
	s_wait_loadcnt 0x0
	v_and_b32_e32 v15, s13, v15
	v_and_b32_e32 v14, s12, v14
	s_delay_alu instid0(VALU_DEP_1) | instskip(NEXT) | instid1(VALU_DEP_1)
	v_mul_u64_e32 v[14:15], 24, v[14:15]
	v_add_nc_u64_e32 v[22:23], v[16:17], v[14:15]
	global_store_b64 v[22:23], v[26:27], off
	global_wb scope:SCOPE_SYS
	s_wait_storecnt 0x0
	s_wait_xcnt 0x0
	global_atomic_cmpswap_b64 v[16:17], v9, v[24:27], s[10:11] offset:32 th:TH_ATOMIC_RETURN scope:SCOPE_SYS
	s_wait_loadcnt 0x0
	v_cmpx_ne_u64_e64 v[16:17], v[26:27]
	s_cbranch_execz .LBB0_335
; %bb.333:                              ;   in Loop: Header=BB0_39 Depth=1
	s_mov_b32 s7, 0
.LBB0_334:                              ;   Parent Loop BB0_39 Depth=1
                                        ; =>  This Inner Loop Header: Depth=2
	v_dual_mov_b32 v14, s12 :: v_dual_mov_b32 v15, s13
	s_sleep 1
	global_store_b64 v[22:23], v[16:17], off
	global_wb scope:SCOPE_SYS
	s_wait_storecnt 0x0
	s_wait_xcnt 0x0
	global_atomic_cmpswap_b64 v[14:15], v9, v[14:17], s[10:11] offset:32 th:TH_ATOMIC_RETURN scope:SCOPE_SYS
	s_wait_loadcnt 0x0
	v_cmp_eq_u64_e32 vcc_lo, v[14:15], v[16:17]
	v_mov_b64_e32 v[16:17], v[14:15]
	s_or_b32 s7, vcc_lo, s7
	s_delay_alu instid0(SALU_CYCLE_1)
	s_and_not1_b32 exec_lo, exec_lo, s7
	s_cbranch_execnz .LBB0_334
.LBB0_335:                              ;   in Loop: Header=BB0_39 Depth=1
	s_or_b32 exec_lo, exec_lo, s6
	global_load_b64 v[14:15], v9, s[10:11] offset:16
	s_mov_b32 s7, exec_lo
	s_mov_b32 s6, exec_lo
	v_mbcnt_lo_u32_b32 v8, s7, 0
	s_wait_xcnt 0x0
	s_delay_alu instid0(VALU_DEP_1)
	v_cmpx_eq_u32_e32 0, v8
	s_cbranch_execz .LBB0_337
; %bb.336:                              ;   in Loop: Header=BB0_39 Depth=1
	s_bcnt1_i32_b32 s7, s7
	s_delay_alu instid0(SALU_CYCLE_1)
	v_mov_b32_e32 v8, s7
	global_wb scope:SCOPE_SYS
	s_wait_loadcnt 0x0
	s_wait_storecnt 0x0
	global_atomic_add_u64 v[14:15], v[8:9], off offset:8 scope:SCOPE_SYS
.LBB0_337:                              ;   in Loop: Header=BB0_39 Depth=1
	s_wait_xcnt 0x0
	s_or_b32 exec_lo, exec_lo, s6
	s_wait_loadcnt 0x0
	global_load_b64 v[16:17], v[14:15], off offset:16
	s_wait_loadcnt 0x0
	v_cmp_eq_u64_e32 vcc_lo, 0, v[16:17]
	s_cbranch_vccnz .LBB0_339
; %bb.338:                              ;   in Loop: Header=BB0_39 Depth=1
	global_load_b32 v8, v[14:15], off offset:24
	s_wait_loadcnt 0x0
	v_readfirstlane_b32 s6, v8
	global_wb scope:SCOPE_SYS
	s_wait_storecnt 0x0
	s_wait_xcnt 0x0
	global_store_b64 v[16:17], v[8:9], off scope:SCOPE_SYS
	s_and_b32 m0, s6, 0xffffff
	s_sendmsg sendmsg(MSG_INTERRUPT)
.LBB0_339:                              ;   in Loop: Header=BB0_39 Depth=1
	s_wait_xcnt 0x0
	s_or_b32 exec_lo, exec_lo, s5
	v_mov_b32_e32 v37, v9
	s_delay_alu instid0(VALU_DEP_1)
	v_add_nc_u64_e32 v[14:15], v[18:19], v[36:37]
	s_branch .LBB0_343
.LBB0_340:                              ;   in Loop: Header=BB0_343 Depth=2
	s_wait_xcnt 0x0
	s_or_b32 exec_lo, exec_lo, s5
	s_delay_alu instid0(VALU_DEP_1)
	v_readfirstlane_b32 s5, v8
	s_cmp_eq_u32 s5, 0
	s_cbranch_scc1 .LBB0_342
; %bb.341:                              ;   in Loop: Header=BB0_343 Depth=2
	s_sleep 1
	s_cbranch_execnz .LBB0_343
	s_branch .LBB0_345
.LBB0_342:                              ;   in Loop: Header=BB0_39 Depth=1
	s_branch .LBB0_345
.LBB0_343:                              ;   Parent Loop BB0_39 Depth=1
                                        ; =>  This Inner Loop Header: Depth=2
	v_mov_b32_e32 v8, 1
	s_and_saveexec_b32 s5, s1
	s_cbranch_execz .LBB0_340
; %bb.344:                              ;   in Loop: Header=BB0_343 Depth=2
	global_load_b32 v8, v[20:21], off offset:20 scope:SCOPE_SYS
	s_wait_loadcnt 0x0
	global_inv scope:SCOPE_SYS
	v_and_b32_e32 v8, 1, v8
	s_branch .LBB0_340
.LBB0_345:                              ;   in Loop: Header=BB0_39 Depth=1
	global_load_b64 v[14:15], v[14:15], off
	s_wait_xcnt 0x0
	s_and_saveexec_b32 s5, s1
	s_cbranch_execz .LBB0_349
; %bb.346:                              ;   in Loop: Header=BB0_39 Depth=1
	s_clause 0x2
	global_load_b64 v[16:17], v9, s[10:11] offset:40
	global_load_b64 v[24:25], v9, s[10:11] offset:24 scope:SCOPE_SYS
	global_load_b64 v[18:19], v9, s[10:11]
	s_wait_loadcnt 0x2
	v_readfirstlane_b32 s14, v16
	v_readfirstlane_b32 s15, v17
	s_add_nc_u64 s[6:7], s[14:15], 1
	s_delay_alu instid0(SALU_CYCLE_1) | instskip(NEXT) | instid1(SALU_CYCLE_1)
	s_add_nc_u64 s[12:13], s[6:7], s[12:13]
	s_cmp_eq_u64 s[12:13], 0
	s_cselect_b32 s7, s7, s13
	s_cselect_b32 s6, s6, s12
	s_delay_alu instid0(SALU_CYCLE_1) | instskip(SKIP_1) | instid1(SALU_CYCLE_1)
	v_dual_mov_b32 v23, s7 :: v_dual_mov_b32 v22, s6
	s_and_b64 s[12:13], s[6:7], s[14:15]
	s_mul_u64 s[12:13], s[12:13], 24
	s_wait_loadcnt 0x0
	v_add_nc_u64_e32 v[20:21], s[12:13], v[18:19]
	global_store_b64 v[20:21], v[24:25], off
	global_wb scope:SCOPE_SYS
	s_wait_storecnt 0x0
	s_wait_xcnt 0x0
	global_atomic_cmpswap_b64 v[18:19], v9, v[22:25], s[10:11] offset:24 th:TH_ATOMIC_RETURN scope:SCOPE_SYS
	s_wait_loadcnt 0x0
	v_cmp_ne_u64_e32 vcc_lo, v[18:19], v[24:25]
	s_and_b32 exec_lo, exec_lo, vcc_lo
	s_cbranch_execz .LBB0_349
; %bb.347:                              ;   in Loop: Header=BB0_39 Depth=1
	s_mov_b32 s1, 0
.LBB0_348:                              ;   Parent Loop BB0_39 Depth=1
                                        ; =>  This Inner Loop Header: Depth=2
	v_dual_mov_b32 v16, s6 :: v_dual_mov_b32 v17, s7
	s_sleep 1
	global_store_b64 v[20:21], v[18:19], off
	global_wb scope:SCOPE_SYS
	s_wait_storecnt 0x0
	s_wait_xcnt 0x0
	global_atomic_cmpswap_b64 v[16:17], v9, v[16:19], s[10:11] offset:24 th:TH_ATOMIC_RETURN scope:SCOPE_SYS
	s_wait_loadcnt 0x0
	v_cmp_eq_u64_e32 vcc_lo, v[16:17], v[18:19]
	v_mov_b64_e32 v[18:19], v[16:17]
	s_or_b32 s1, vcc_lo, s1
	s_delay_alu instid0(SALU_CYCLE_1)
	s_and_not1_b32 exec_lo, exec_lo, s1
	s_cbranch_execnz .LBB0_348
.LBB0_349:                              ;   in Loop: Header=BB0_39 Depth=1
	s_or_b32 exec_lo, exec_lo, s5
	s_delay_alu instid0(SALU_CYCLE_1)
	s_and_b32 vcc_lo, exec_lo, s22
	s_cbranch_vccz .LBB0_428
; %bb.350:                              ;   in Loop: Header=BB0_39 Depth=1
	s_wait_loadcnt 0x0
	v_dual_mov_b32 v17, v15 :: v_dual_bitop2_b32 v16, -3, v14 bitop3:0x40
	s_mov_b64 s[12:13], 39
	s_get_pc_i64 s[6:7]
	s_add_nc_u64 s[6:7], s[6:7], .str.2@rel64+4
	s_branch .LBB0_352
.LBB0_351:                              ;   in Loop: Header=BB0_352 Depth=2
	s_or_b32 exec_lo, exec_lo, s5
	s_sub_nc_u64 s[12:13], s[12:13], s[14:15]
	s_add_nc_u64 s[6:7], s[6:7], s[14:15]
	s_cmp_eq_u64 s[12:13], 0
	s_cbranch_scc1 .LBB0_427
.LBB0_352:                              ;   Parent Loop BB0_39 Depth=1
                                        ; =>  This Loop Header: Depth=2
                                        ;       Child Loop BB0_355 Depth 3
                                        ;       Child Loop BB0_362 Depth 3
	;; [unrolled: 1-line block ×11, first 2 shown]
	s_wait_loadcnt 0x0
	v_min_u64 v[18:19], s[12:13], 56
	v_cmp_gt_u64_e64 s1, s[12:13], 7
	s_and_b32 vcc_lo, exec_lo, s1
	v_readfirstlane_b32 s14, v18
	v_readfirstlane_b32 s15, v19
	s_cbranch_vccnz .LBB0_357
; %bb.353:                              ;   in Loop: Header=BB0_352 Depth=2
	v_mov_b64_e32 v[18:19], 0
	s_cmp_eq_u64 s[12:13], 0
	s_cbranch_scc1 .LBB0_356
; %bb.354:                              ;   in Loop: Header=BB0_352 Depth=2
	s_mov_b64 s[16:17], 0
	s_mov_b64 s[18:19], 0
.LBB0_355:                              ;   Parent Loop BB0_39 Depth=1
                                        ;     Parent Loop BB0_352 Depth=2
                                        ; =>    This Inner Loop Header: Depth=3
	s_wait_xcnt 0x0
	s_add_nc_u64 s[20:21], s[6:7], s[18:19]
	s_add_nc_u64 s[18:19], s[18:19], 1
	global_load_u8 v8, v9, s[20:21]
	s_cmp_lg_u32 s14, s18
	s_wait_loadcnt 0x0
	v_and_b32_e32 v8, 0xffff, v8
	s_delay_alu instid0(VALU_DEP_1) | instskip(SKIP_1) | instid1(VALU_DEP_1)
	v_lshlrev_b64_e32 v[20:21], s16, v[8:9]
	s_add_nc_u64 s[16:17], s[16:17], 8
	v_or_b32_e32 v18, v20, v18
	s_delay_alu instid0(VALU_DEP_2)
	v_or_b32_e32 v19, v21, v19
	s_cbranch_scc1 .LBB0_355
.LBB0_356:                              ;   in Loop: Header=BB0_352 Depth=2
	s_mov_b64 s[16:17], s[6:7]
	s_mov_b32 s1, 0
	s_cbranch_execz .LBB0_358
	s_branch .LBB0_359
.LBB0_357:                              ;   in Loop: Header=BB0_352 Depth=2
	s_add_nc_u64 s[16:17], s[6:7], 8
	s_mov_b32 s1, 0
.LBB0_358:                              ;   in Loop: Header=BB0_352 Depth=2
	global_load_b64 v[18:19], v9, s[6:7]
	s_add_co_i32 s1, s14, -8
.LBB0_359:                              ;   in Loop: Header=BB0_352 Depth=2
	s_delay_alu instid0(SALU_CYCLE_1)
	s_cmp_gt_u32 s1, 7
	s_cbranch_scc1 .LBB0_364
; %bb.360:                              ;   in Loop: Header=BB0_352 Depth=2
	v_mov_b64_e32 v[20:21], 0
	s_cmp_eq_u32 s1, 0
	s_cbranch_scc1 .LBB0_363
; %bb.361:                              ;   in Loop: Header=BB0_352 Depth=2
	s_mov_b64 s[18:19], 0
	s_wait_xcnt 0x0
	s_mov_b64 s[20:21], 0
.LBB0_362:                              ;   Parent Loop BB0_39 Depth=1
                                        ;     Parent Loop BB0_352 Depth=2
                                        ; =>    This Inner Loop Header: Depth=3
	s_wait_xcnt 0x0
	s_add_nc_u64 s[26:27], s[16:17], s[20:21]
	s_add_nc_u64 s[20:21], s[20:21], 1
	global_load_u8 v8, v9, s[26:27]
	s_cmp_lg_u32 s1, s20
	s_wait_loadcnt 0x0
	v_and_b32_e32 v8, 0xffff, v8
	s_delay_alu instid0(VALU_DEP_1) | instskip(SKIP_1) | instid1(VALU_DEP_1)
	v_lshlrev_b64_e32 v[22:23], s18, v[8:9]
	s_add_nc_u64 s[18:19], s[18:19], 8
	v_or_b32_e32 v20, v22, v20
	s_delay_alu instid0(VALU_DEP_2)
	v_or_b32_e32 v21, v23, v21
	s_cbranch_scc1 .LBB0_362
.LBB0_363:                              ;   in Loop: Header=BB0_352 Depth=2
	s_mov_b64 s[18:19], s[16:17]
	s_mov_b32 s5, 0
	s_cbranch_execz .LBB0_365
	s_branch .LBB0_366
.LBB0_364:                              ;   in Loop: Header=BB0_352 Depth=2
	s_add_nc_u64 s[18:19], s[16:17], 8
                                        ; implicit-def: $vgpr20_vgpr21
	s_mov_b32 s5, 0
.LBB0_365:                              ;   in Loop: Header=BB0_352 Depth=2
	global_load_b64 v[20:21], v9, s[16:17]
	s_add_co_i32 s5, s1, -8
.LBB0_366:                              ;   in Loop: Header=BB0_352 Depth=2
	s_delay_alu instid0(SALU_CYCLE_1)
	s_cmp_gt_u32 s5, 7
	s_cbranch_scc1 .LBB0_371
; %bb.367:                              ;   in Loop: Header=BB0_352 Depth=2
	v_mov_b64_e32 v[22:23], 0
	s_cmp_eq_u32 s5, 0
	s_cbranch_scc1 .LBB0_370
; %bb.368:                              ;   in Loop: Header=BB0_352 Depth=2
	s_wait_xcnt 0x0
	s_mov_b64 s[16:17], 0
	s_mov_b64 s[20:21], 0
.LBB0_369:                              ;   Parent Loop BB0_39 Depth=1
                                        ;     Parent Loop BB0_352 Depth=2
                                        ; =>    This Inner Loop Header: Depth=3
	s_wait_xcnt 0x0
	s_add_nc_u64 s[26:27], s[18:19], s[20:21]
	s_add_nc_u64 s[20:21], s[20:21], 1
	global_load_u8 v8, v9, s[26:27]
	s_cmp_lg_u32 s5, s20
	s_wait_loadcnt 0x0
	v_and_b32_e32 v8, 0xffff, v8
	s_delay_alu instid0(VALU_DEP_1) | instskip(SKIP_1) | instid1(VALU_DEP_1)
	v_lshlrev_b64_e32 v[24:25], s16, v[8:9]
	s_add_nc_u64 s[16:17], s[16:17], 8
	v_or_b32_e32 v22, v24, v22
	s_delay_alu instid0(VALU_DEP_2)
	v_or_b32_e32 v23, v25, v23
	s_cbranch_scc1 .LBB0_369
.LBB0_370:                              ;   in Loop: Header=BB0_352 Depth=2
	s_wait_xcnt 0x0
	s_mov_b64 s[16:17], s[18:19]
	s_mov_b32 s1, 0
	s_cbranch_execz .LBB0_372
	s_branch .LBB0_373
.LBB0_371:                              ;   in Loop: Header=BB0_352 Depth=2
	s_wait_xcnt 0x0
	s_add_nc_u64 s[16:17], s[18:19], 8
	s_mov_b32 s1, 0
.LBB0_372:                              ;   in Loop: Header=BB0_352 Depth=2
	global_load_b64 v[22:23], v9, s[18:19]
	s_add_co_i32 s1, s5, -8
.LBB0_373:                              ;   in Loop: Header=BB0_352 Depth=2
	s_delay_alu instid0(SALU_CYCLE_1)
	s_cmp_gt_u32 s1, 7
	s_cbranch_scc1 .LBB0_378
; %bb.374:                              ;   in Loop: Header=BB0_352 Depth=2
	v_mov_b64_e32 v[24:25], 0
	s_cmp_eq_u32 s1, 0
	s_cbranch_scc1 .LBB0_377
; %bb.375:                              ;   in Loop: Header=BB0_352 Depth=2
	s_wait_xcnt 0x0
	s_mov_b64 s[18:19], 0
	s_mov_b64 s[20:21], 0
.LBB0_376:                              ;   Parent Loop BB0_39 Depth=1
                                        ;     Parent Loop BB0_352 Depth=2
                                        ; =>    This Inner Loop Header: Depth=3
	s_wait_xcnt 0x0
	s_add_nc_u64 s[26:27], s[16:17], s[20:21]
	s_add_nc_u64 s[20:21], s[20:21], 1
	global_load_u8 v8, v9, s[26:27]
	s_cmp_lg_u32 s1, s20
	s_wait_loadcnt 0x0
	v_and_b32_e32 v8, 0xffff, v8
	s_delay_alu instid0(VALU_DEP_1) | instskip(SKIP_1) | instid1(VALU_DEP_1)
	v_lshlrev_b64_e32 v[26:27], s18, v[8:9]
	s_add_nc_u64 s[18:19], s[18:19], 8
	v_or_b32_e32 v24, v26, v24
	s_delay_alu instid0(VALU_DEP_2)
	v_or_b32_e32 v25, v27, v25
	s_cbranch_scc1 .LBB0_376
.LBB0_377:                              ;   in Loop: Header=BB0_352 Depth=2
	s_wait_xcnt 0x0
	s_mov_b64 s[18:19], s[16:17]
	s_mov_b32 s5, 0
	s_cbranch_execz .LBB0_379
	s_branch .LBB0_380
.LBB0_378:                              ;   in Loop: Header=BB0_352 Depth=2
	s_wait_xcnt 0x0
	s_add_nc_u64 s[18:19], s[16:17], 8
                                        ; implicit-def: $vgpr24_vgpr25
	s_mov_b32 s5, 0
.LBB0_379:                              ;   in Loop: Header=BB0_352 Depth=2
	global_load_b64 v[24:25], v9, s[16:17]
	s_add_co_i32 s5, s1, -8
.LBB0_380:                              ;   in Loop: Header=BB0_352 Depth=2
	s_delay_alu instid0(SALU_CYCLE_1)
	s_cmp_gt_u32 s5, 7
	s_cbranch_scc1 .LBB0_385
; %bb.381:                              ;   in Loop: Header=BB0_352 Depth=2
	v_mov_b64_e32 v[26:27], 0
	s_cmp_eq_u32 s5, 0
	s_cbranch_scc1 .LBB0_384
; %bb.382:                              ;   in Loop: Header=BB0_352 Depth=2
	s_wait_xcnt 0x0
	s_mov_b64 s[16:17], 0
	s_mov_b64 s[20:21], 0
.LBB0_383:                              ;   Parent Loop BB0_39 Depth=1
                                        ;     Parent Loop BB0_352 Depth=2
                                        ; =>    This Inner Loop Header: Depth=3
	s_wait_xcnt 0x0
	s_add_nc_u64 s[26:27], s[18:19], s[20:21]
	s_add_nc_u64 s[20:21], s[20:21], 1
	global_load_u8 v8, v9, s[26:27]
	s_cmp_lg_u32 s5, s20
	s_wait_loadcnt 0x0
	v_and_b32_e32 v8, 0xffff, v8
	s_delay_alu instid0(VALU_DEP_1) | instskip(SKIP_1) | instid1(VALU_DEP_1)
	v_lshlrev_b64_e32 v[28:29], s16, v[8:9]
	s_add_nc_u64 s[16:17], s[16:17], 8
	v_or_b32_e32 v26, v28, v26
	s_delay_alu instid0(VALU_DEP_2)
	v_or_b32_e32 v27, v29, v27
	s_cbranch_scc1 .LBB0_383
.LBB0_384:                              ;   in Loop: Header=BB0_352 Depth=2
	s_wait_xcnt 0x0
	s_mov_b64 s[16:17], s[18:19]
	s_mov_b32 s1, 0
	s_cbranch_execz .LBB0_386
	s_branch .LBB0_387
.LBB0_385:                              ;   in Loop: Header=BB0_352 Depth=2
	s_wait_xcnt 0x0
	s_add_nc_u64 s[16:17], s[18:19], 8
	s_mov_b32 s1, 0
.LBB0_386:                              ;   in Loop: Header=BB0_352 Depth=2
	global_load_b64 v[26:27], v9, s[18:19]
	s_add_co_i32 s1, s5, -8
.LBB0_387:                              ;   in Loop: Header=BB0_352 Depth=2
	s_delay_alu instid0(SALU_CYCLE_1)
	s_cmp_gt_u32 s1, 7
	s_cbranch_scc1 .LBB0_392
; %bb.388:                              ;   in Loop: Header=BB0_352 Depth=2
	v_mov_b64_e32 v[28:29], 0
	s_cmp_eq_u32 s1, 0
	s_cbranch_scc1 .LBB0_391
; %bb.389:                              ;   in Loop: Header=BB0_352 Depth=2
	s_wait_xcnt 0x0
	s_mov_b64 s[18:19], 0
	s_mov_b64 s[20:21], 0
.LBB0_390:                              ;   Parent Loop BB0_39 Depth=1
                                        ;     Parent Loop BB0_352 Depth=2
                                        ; =>    This Inner Loop Header: Depth=3
	s_wait_xcnt 0x0
	s_add_nc_u64 s[26:27], s[16:17], s[20:21]
	s_add_nc_u64 s[20:21], s[20:21], 1
	global_load_u8 v8, v9, s[26:27]
	s_cmp_lg_u32 s1, s20
	s_wait_loadcnt 0x0
	v_and_b32_e32 v8, 0xffff, v8
	s_delay_alu instid0(VALU_DEP_1) | instskip(SKIP_1) | instid1(VALU_DEP_1)
	v_lshlrev_b64_e32 v[30:31], s18, v[8:9]
	s_add_nc_u64 s[18:19], s[18:19], 8
	v_or_b32_e32 v28, v30, v28
	s_delay_alu instid0(VALU_DEP_2)
	v_or_b32_e32 v29, v31, v29
	s_cbranch_scc1 .LBB0_390
.LBB0_391:                              ;   in Loop: Header=BB0_352 Depth=2
	s_wait_xcnt 0x0
	s_mov_b64 s[18:19], s[16:17]
	s_mov_b32 s5, 0
	s_cbranch_execz .LBB0_393
	s_branch .LBB0_394
.LBB0_392:                              ;   in Loop: Header=BB0_352 Depth=2
	s_wait_xcnt 0x0
	s_add_nc_u64 s[18:19], s[16:17], 8
                                        ; implicit-def: $vgpr28_vgpr29
	s_mov_b32 s5, 0
.LBB0_393:                              ;   in Loop: Header=BB0_352 Depth=2
	global_load_b64 v[28:29], v9, s[16:17]
	s_add_co_i32 s5, s1, -8
.LBB0_394:                              ;   in Loop: Header=BB0_352 Depth=2
	s_delay_alu instid0(SALU_CYCLE_1)
	s_cmp_gt_u32 s5, 7
	s_cbranch_scc1 .LBB0_399
; %bb.395:                              ;   in Loop: Header=BB0_352 Depth=2
	v_mov_b64_e32 v[30:31], 0
	s_cmp_eq_u32 s5, 0
	s_cbranch_scc1 .LBB0_398
; %bb.396:                              ;   in Loop: Header=BB0_352 Depth=2
	s_wait_xcnt 0x0
	s_mov_b64 s[16:17], 0
	s_mov_b64 s[20:21], s[18:19]
.LBB0_397:                              ;   Parent Loop BB0_39 Depth=1
                                        ;     Parent Loop BB0_352 Depth=2
                                        ; =>    This Inner Loop Header: Depth=3
	global_load_u8 v8, v9, s[20:21]
	s_add_co_i32 s5, s5, -1
	s_wait_xcnt 0x0
	s_add_nc_u64 s[20:21], s[20:21], 1
	s_cmp_lg_u32 s5, 0
	s_wait_loadcnt 0x0
	v_and_b32_e32 v8, 0xffff, v8
	s_delay_alu instid0(VALU_DEP_1) | instskip(SKIP_1) | instid1(VALU_DEP_1)
	v_lshlrev_b64_e32 v[32:33], s16, v[8:9]
	s_add_nc_u64 s[16:17], s[16:17], 8
	v_or_b32_e32 v30, v32, v30
	s_delay_alu instid0(VALU_DEP_2)
	v_or_b32_e32 v31, v33, v31
	s_cbranch_scc1 .LBB0_397
.LBB0_398:                              ;   in Loop: Header=BB0_352 Depth=2
	s_cbranch_execz .LBB0_400
	s_branch .LBB0_401
.LBB0_399:                              ;   in Loop: Header=BB0_352 Depth=2
.LBB0_400:                              ;   in Loop: Header=BB0_352 Depth=2
	global_load_b64 v[30:31], v9, s[18:19]
.LBB0_401:                              ;   in Loop: Header=BB0_352 Depth=2
	v_readfirstlane_b32 s1, v50
	v_mov_b64_e32 v[38:39], 0
	s_delay_alu instid0(VALU_DEP_2)
	v_cmp_eq_u32_e64 s1, s1, v50
	s_wait_xcnt 0x0
	s_and_saveexec_b32 s5, s1
	s_cbranch_execz .LBB0_407
; %bb.402:                              ;   in Loop: Header=BB0_352 Depth=2
	global_load_b64 v[34:35], v9, s[10:11] offset:24 scope:SCOPE_SYS
	s_wait_loadcnt 0x0
	global_inv scope:SCOPE_SYS
	s_clause 0x1
	global_load_b64 v[32:33], v9, s[10:11] offset:40
	global_load_b64 v[38:39], v9, s[10:11]
	s_mov_b32 s16, exec_lo
	s_wait_loadcnt 0x1
	v_and_b32_e32 v32, v32, v34
	v_and_b32_e32 v33, v33, v35
	s_delay_alu instid0(VALU_DEP_1) | instskip(SKIP_1) | instid1(VALU_DEP_1)
	v_mul_u64_e32 v[32:33], 24, v[32:33]
	s_wait_loadcnt 0x0
	v_add_nc_u64_e32 v[32:33], v[38:39], v[32:33]
	global_load_b64 v[32:33], v[32:33], off scope:SCOPE_SYS
	s_wait_xcnt 0x0
	s_wait_loadcnt 0x0
	global_atomic_cmpswap_b64 v[38:39], v9, v[32:35], s[10:11] offset:24 th:TH_ATOMIC_RETURN scope:SCOPE_SYS
	s_wait_loadcnt 0x0
	global_inv scope:SCOPE_SYS
	s_wait_xcnt 0x0
	v_cmpx_ne_u64_e64 v[38:39], v[34:35]
	s_cbranch_execz .LBB0_406
; %bb.403:                              ;   in Loop: Header=BB0_352 Depth=2
	s_mov_b32 s17, 0
.LBB0_404:                              ;   Parent Loop BB0_39 Depth=1
                                        ;     Parent Loop BB0_352 Depth=2
                                        ; =>    This Inner Loop Header: Depth=3
	s_sleep 1
	s_clause 0x1
	global_load_b64 v[32:33], v9, s[10:11] offset:40
	global_load_b64 v[48:49], v9, s[10:11]
	v_mov_b64_e32 v[34:35], v[38:39]
	s_wait_loadcnt 0x1
	s_delay_alu instid0(VALU_DEP_1) | instskip(SKIP_1) | instid1(VALU_DEP_1)
	v_and_b32_e32 v8, v32, v34
	s_wait_loadcnt 0x0
	v_mad_nc_u64_u32 v[38:39], v8, 24, v[48:49]
	s_delay_alu instid0(VALU_DEP_3) | instskip(NEXT) | instid1(VALU_DEP_1)
	v_and_b32_e32 v8, v33, v35
	v_mad_u32 v39, v8, 24, v39
	global_load_b64 v[32:33], v[38:39], off scope:SCOPE_SYS
	s_wait_xcnt 0x0
	s_wait_loadcnt 0x0
	global_atomic_cmpswap_b64 v[38:39], v9, v[32:35], s[10:11] offset:24 th:TH_ATOMIC_RETURN scope:SCOPE_SYS
	s_wait_loadcnt 0x0
	global_inv scope:SCOPE_SYS
	v_cmp_eq_u64_e32 vcc_lo, v[38:39], v[34:35]
	s_or_b32 s17, vcc_lo, s17
	s_wait_xcnt 0x0
	s_and_not1_b32 exec_lo, exec_lo, s17
	s_cbranch_execnz .LBB0_404
; %bb.405:                              ;   in Loop: Header=BB0_352 Depth=2
	s_or_b32 exec_lo, exec_lo, s17
.LBB0_406:                              ;   in Loop: Header=BB0_352 Depth=2
	s_delay_alu instid0(SALU_CYCLE_1)
	s_or_b32 exec_lo, exec_lo, s16
.LBB0_407:                              ;   in Loop: Header=BB0_352 Depth=2
	s_delay_alu instid0(SALU_CYCLE_1)
	s_or_b32 exec_lo, exec_lo, s5
	s_clause 0x1
	global_load_b64 v[48:49], v9, s[10:11] offset:40
	global_load_b128 v[32:35], v9, s[10:11]
	v_readfirstlane_b32 s16, v38
	v_readfirstlane_b32 s17, v39
	s_mov_b32 s5, exec_lo
	s_wait_loadcnt 0x1
	v_and_b32_e32 v48, s16, v48
	v_and_b32_e32 v49, s17, v49
	s_delay_alu instid0(VALU_DEP_1) | instskip(SKIP_1) | instid1(VALU_DEP_1)
	v_mul_u64_e32 v[38:39], 24, v[48:49]
	s_wait_loadcnt 0x0
	v_add_nc_u64_e32 v[38:39], v[32:33], v[38:39]
	s_wait_xcnt 0x0
	s_and_saveexec_b32 s18, s1
	s_cbranch_execz .LBB0_409
; %bb.408:                              ;   in Loop: Header=BB0_352 Depth=2
	v_mov_b32_e32 v8, s5
	global_store_b128 v[38:39], v[8:11], off offset:8
.LBB0_409:                              ;   in Loop: Header=BB0_352 Depth=2
	s_wait_xcnt 0x0
	s_or_b32 exec_lo, exec_lo, s18
	v_cmp_gt_u64_e64 s5, s[12:13], 56
	v_lshlrev_b64_e32 v[48:49], 12, v[48:49]
	v_and_b32_e32 v8, 0xffffff1f, v16
	s_and_b32 s5, s5, exec_lo
	s_delay_alu instid0(VALU_DEP_2) | instskip(SKIP_4) | instid1(VALU_DEP_2)
	v_add_nc_u64_e32 v[34:35], v[34:35], v[48:49]
	s_cselect_b32 s5, 0, 2
	s_lshl_b32 s18, s14, 2
	v_or_b32_e32 v8, s5, v8
	s_add_co_i32 s5, s18, 28
	v_readfirstlane_b32 s18, v34
	s_delay_alu instid0(VALU_DEP_3) | instskip(NEXT) | instid1(VALU_DEP_3)
	v_readfirstlane_b32 s19, v35
	v_and_or_b32 v16, 0x1e0, s5, v8
	s_clause 0x3
	global_store_b128 v36, v[16:19], s[18:19]
	global_store_b128 v36, v[20:23], s[18:19] offset:16
	global_store_b128 v36, v[24:27], s[18:19] offset:32
	;; [unrolled: 1-line block ×3, first 2 shown]
	s_wait_xcnt 0x0
	s_and_saveexec_b32 s5, s1
	s_cbranch_execz .LBB0_417
; %bb.410:                              ;   in Loop: Header=BB0_352 Depth=2
	s_clause 0x1
	global_load_b64 v[24:25], v9, s[10:11] offset:32 scope:SCOPE_SYS
	global_load_b64 v[16:17], v9, s[10:11] offset:40
	s_mov_b32 s18, exec_lo
	v_dual_mov_b32 v22, s16 :: v_dual_mov_b32 v23, s17
	s_wait_loadcnt 0x0
	v_and_b32_e32 v17, s17, v17
	v_and_b32_e32 v16, s16, v16
	s_delay_alu instid0(VALU_DEP_1) | instskip(NEXT) | instid1(VALU_DEP_1)
	v_mul_u64_e32 v[16:17], 24, v[16:17]
	v_add_nc_u64_e32 v[20:21], v[32:33], v[16:17]
	global_store_b64 v[20:21], v[24:25], off
	global_wb scope:SCOPE_SYS
	s_wait_storecnt 0x0
	s_wait_xcnt 0x0
	global_atomic_cmpswap_b64 v[18:19], v9, v[22:25], s[10:11] offset:32 th:TH_ATOMIC_RETURN scope:SCOPE_SYS
	s_wait_loadcnt 0x0
	v_cmpx_ne_u64_e64 v[18:19], v[24:25]
	s_cbranch_execz .LBB0_413
; %bb.411:                              ;   in Loop: Header=BB0_352 Depth=2
	s_mov_b32 s19, 0
.LBB0_412:                              ;   Parent Loop BB0_39 Depth=1
                                        ;     Parent Loop BB0_352 Depth=2
                                        ; =>    This Inner Loop Header: Depth=3
	v_dual_mov_b32 v16, s16 :: v_dual_mov_b32 v17, s17
	s_sleep 1
	global_store_b64 v[20:21], v[18:19], off
	global_wb scope:SCOPE_SYS
	s_wait_storecnt 0x0
	s_wait_xcnt 0x0
	global_atomic_cmpswap_b64 v[16:17], v9, v[16:19], s[10:11] offset:32 th:TH_ATOMIC_RETURN scope:SCOPE_SYS
	s_wait_loadcnt 0x0
	v_cmp_eq_u64_e32 vcc_lo, v[16:17], v[18:19]
	v_mov_b64_e32 v[18:19], v[16:17]
	s_or_b32 s19, vcc_lo, s19
	s_delay_alu instid0(SALU_CYCLE_1)
	s_and_not1_b32 exec_lo, exec_lo, s19
	s_cbranch_execnz .LBB0_412
.LBB0_413:                              ;   in Loop: Header=BB0_352 Depth=2
	s_or_b32 exec_lo, exec_lo, s18
	global_load_b64 v[16:17], v9, s[10:11] offset:16
	s_mov_b32 s19, exec_lo
	s_mov_b32 s18, exec_lo
	v_mbcnt_lo_u32_b32 v8, s19, 0
	s_wait_xcnt 0x0
	s_delay_alu instid0(VALU_DEP_1)
	v_cmpx_eq_u32_e32 0, v8
	s_cbranch_execz .LBB0_415
; %bb.414:                              ;   in Loop: Header=BB0_352 Depth=2
	s_bcnt1_i32_b32 s19, s19
	s_delay_alu instid0(SALU_CYCLE_1)
	v_mov_b32_e32 v8, s19
	global_wb scope:SCOPE_SYS
	s_wait_loadcnt 0x0
	s_wait_storecnt 0x0
	global_atomic_add_u64 v[16:17], v[8:9], off offset:8 scope:SCOPE_SYS
.LBB0_415:                              ;   in Loop: Header=BB0_352 Depth=2
	s_wait_xcnt 0x0
	s_or_b32 exec_lo, exec_lo, s18
	s_wait_loadcnt 0x0
	global_load_b64 v[18:19], v[16:17], off offset:16
	s_wait_loadcnt 0x0
	v_cmp_eq_u64_e32 vcc_lo, 0, v[18:19]
	s_cbranch_vccnz .LBB0_417
; %bb.416:                              ;   in Loop: Header=BB0_352 Depth=2
	global_load_b32 v8, v[16:17], off offset:24
	s_wait_loadcnt 0x0
	v_readfirstlane_b32 s18, v8
	global_wb scope:SCOPE_SYS
	s_wait_storecnt 0x0
	s_wait_xcnt 0x0
	global_store_b64 v[18:19], v[8:9], off scope:SCOPE_SYS
	s_and_b32 m0, s18, 0xffffff
	s_sendmsg sendmsg(MSG_INTERRUPT)
.LBB0_417:                              ;   in Loop: Header=BB0_352 Depth=2
	s_wait_xcnt 0x0
	s_or_b32 exec_lo, exec_lo, s5
	v_mov_b32_e32 v37, v9
	s_delay_alu instid0(VALU_DEP_1)
	v_add_nc_u64_e32 v[16:17], v[34:35], v[36:37]
	s_branch .LBB0_421
.LBB0_418:                              ;   in Loop: Header=BB0_421 Depth=3
	s_wait_xcnt 0x0
	s_or_b32 exec_lo, exec_lo, s5
	s_delay_alu instid0(VALU_DEP_1)
	v_readfirstlane_b32 s5, v8
	s_cmp_eq_u32 s5, 0
	s_cbranch_scc1 .LBB0_420
; %bb.419:                              ;   in Loop: Header=BB0_421 Depth=3
	s_sleep 1
	s_cbranch_execnz .LBB0_421
	s_branch .LBB0_423
.LBB0_420:                              ;   in Loop: Header=BB0_352 Depth=2
	s_branch .LBB0_423
.LBB0_421:                              ;   Parent Loop BB0_39 Depth=1
                                        ;     Parent Loop BB0_352 Depth=2
                                        ; =>    This Inner Loop Header: Depth=3
	v_mov_b32_e32 v8, 1
	s_and_saveexec_b32 s5, s1
	s_cbranch_execz .LBB0_418
; %bb.422:                              ;   in Loop: Header=BB0_421 Depth=3
	global_load_b32 v8, v[38:39], off offset:20 scope:SCOPE_SYS
	s_wait_loadcnt 0x0
	global_inv scope:SCOPE_SYS
	v_and_b32_e32 v8, 1, v8
	s_branch .LBB0_418
.LBB0_423:                              ;   in Loop: Header=BB0_352 Depth=2
	global_load_b128 v[16:19], v[16:17], off
	s_wait_xcnt 0x0
	s_and_saveexec_b32 s5, s1
	s_cbranch_execz .LBB0_351
; %bb.424:                              ;   in Loop: Header=BB0_352 Depth=2
	s_wait_loadcnt 0x0
	s_clause 0x2
	global_load_b64 v[18:19], v9, s[10:11] offset:40
	global_load_b64 v[26:27], v9, s[10:11] offset:24 scope:SCOPE_SYS
	global_load_b64 v[20:21], v9, s[10:11]
	s_wait_loadcnt 0x2
	v_readfirstlane_b32 s18, v18
	v_readfirstlane_b32 s19, v19
	s_add_nc_u64 s[20:21], s[18:19], 1
	s_delay_alu instid0(SALU_CYCLE_1) | instskip(NEXT) | instid1(SALU_CYCLE_1)
	s_add_nc_u64 s[16:17], s[20:21], s[16:17]
	s_cmp_eq_u64 s[16:17], 0
	s_cselect_b32 s17, s21, s17
	s_cselect_b32 s16, s20, s16
	s_delay_alu instid0(SALU_CYCLE_1) | instskip(SKIP_1) | instid1(SALU_CYCLE_1)
	v_dual_mov_b32 v25, s17 :: v_dual_mov_b32 v24, s16
	s_and_b64 s[18:19], s[16:17], s[18:19]
	s_mul_u64 s[18:19], s[18:19], 24
	s_wait_loadcnt 0x0
	v_add_nc_u64_e32 v[22:23], s[18:19], v[20:21]
	global_store_b64 v[22:23], v[26:27], off
	global_wb scope:SCOPE_SYS
	s_wait_storecnt 0x0
	s_wait_xcnt 0x0
	global_atomic_cmpswap_b64 v[20:21], v9, v[24:27], s[10:11] offset:24 th:TH_ATOMIC_RETURN scope:SCOPE_SYS
	s_wait_loadcnt 0x0
	v_cmp_ne_u64_e32 vcc_lo, v[20:21], v[26:27]
	s_and_b32 exec_lo, exec_lo, vcc_lo
	s_cbranch_execz .LBB0_351
; %bb.425:                              ;   in Loop: Header=BB0_352 Depth=2
	s_mov_b32 s1, 0
.LBB0_426:                              ;   Parent Loop BB0_39 Depth=1
                                        ;     Parent Loop BB0_352 Depth=2
                                        ; =>    This Inner Loop Header: Depth=3
	v_dual_mov_b32 v18, s16 :: v_dual_mov_b32 v19, s17
	s_sleep 1
	global_store_b64 v[22:23], v[20:21], off
	global_wb scope:SCOPE_SYS
	s_wait_storecnt 0x0
	s_wait_xcnt 0x0
	global_atomic_cmpswap_b64 v[18:19], v9, v[18:21], s[10:11] offset:24 th:TH_ATOMIC_RETURN scope:SCOPE_SYS
	s_wait_loadcnt 0x0
	v_cmp_eq_u64_e32 vcc_lo, v[18:19], v[20:21]
	v_mov_b64_e32 v[20:21], v[18:19]
	s_or_b32 s1, vcc_lo, s1
	s_delay_alu instid0(SALU_CYCLE_1)
	s_and_not1_b32 exec_lo, exec_lo, s1
	s_cbranch_execnz .LBB0_426
	s_branch .LBB0_351
.LBB0_427:                              ;   in Loop: Header=BB0_39 Depth=1
	s_branch .LBB0_457
.LBB0_428:                              ;   in Loop: Header=BB0_39 Depth=1
	s_cbranch_execz .LBB0_457
; %bb.429:                              ;   in Loop: Header=BB0_39 Depth=1
	v_readfirstlane_b32 s1, v50
	s_wait_loadcnt 0x0
	v_mov_b64_e32 v[16:17], 0
	s_delay_alu instid0(VALU_DEP_2)
	v_cmp_eq_u32_e64 s1, s1, v50
	s_and_saveexec_b32 s5, s1
	s_cbranch_execz .LBB0_435
; %bb.430:                              ;   in Loop: Header=BB0_39 Depth=1
	global_load_b64 v[18:19], v9, s[10:11] offset:24 scope:SCOPE_SYS
	s_wait_loadcnt 0x0
	global_inv scope:SCOPE_SYS
	s_clause 0x1
	global_load_b64 v[16:17], v9, s[10:11] offset:40
	global_load_b64 v[20:21], v9, s[10:11]
	s_mov_b32 s6, exec_lo
	s_wait_loadcnt 0x1
	v_and_b32_e32 v16, v16, v18
	v_and_b32_e32 v17, v17, v19
	s_delay_alu instid0(VALU_DEP_1) | instskip(SKIP_1) | instid1(VALU_DEP_1)
	v_mul_u64_e32 v[16:17], 24, v[16:17]
	s_wait_loadcnt 0x0
	v_add_nc_u64_e32 v[16:17], v[20:21], v[16:17]
	global_load_b64 v[16:17], v[16:17], off scope:SCOPE_SYS
	s_wait_xcnt 0x0
	s_wait_loadcnt 0x0
	global_atomic_cmpswap_b64 v[16:17], v9, v[16:19], s[10:11] offset:24 th:TH_ATOMIC_RETURN scope:SCOPE_SYS
	s_wait_loadcnt 0x0
	global_inv scope:SCOPE_SYS
	s_wait_xcnt 0x0
	v_cmpx_ne_u64_e64 v[16:17], v[18:19]
	s_cbranch_execz .LBB0_434
; %bb.431:                              ;   in Loop: Header=BB0_39 Depth=1
	s_mov_b32 s7, 0
.LBB0_432:                              ;   Parent Loop BB0_39 Depth=1
                                        ; =>  This Inner Loop Header: Depth=2
	s_sleep 1
	s_clause 0x1
	global_load_b64 v[20:21], v9, s[10:11] offset:40
	global_load_b64 v[22:23], v9, s[10:11]
	v_mov_b64_e32 v[18:19], v[16:17]
	s_wait_loadcnt 0x1
	s_delay_alu instid0(VALU_DEP_1) | instskip(SKIP_1) | instid1(VALU_DEP_1)
	v_and_b32_e32 v8, v20, v18
	s_wait_loadcnt 0x0
	v_mad_nc_u64_u32 v[16:17], v8, 24, v[22:23]
	s_delay_alu instid0(VALU_DEP_3) | instskip(NEXT) | instid1(VALU_DEP_1)
	v_and_b32_e32 v8, v21, v19
	v_mad_u32 v17, v8, 24, v17
	global_load_b64 v[16:17], v[16:17], off scope:SCOPE_SYS
	s_wait_xcnt 0x0
	s_wait_loadcnt 0x0
	global_atomic_cmpswap_b64 v[16:17], v9, v[16:19], s[10:11] offset:24 th:TH_ATOMIC_RETURN scope:SCOPE_SYS
	s_wait_loadcnt 0x0
	global_inv scope:SCOPE_SYS
	v_cmp_eq_u64_e32 vcc_lo, v[16:17], v[18:19]
	s_or_b32 s7, vcc_lo, s7
	s_wait_xcnt 0x0
	s_and_not1_b32 exec_lo, exec_lo, s7
	s_cbranch_execnz .LBB0_432
; %bb.433:                              ;   in Loop: Header=BB0_39 Depth=1
	s_or_b32 exec_lo, exec_lo, s7
.LBB0_434:                              ;   in Loop: Header=BB0_39 Depth=1
	s_delay_alu instid0(SALU_CYCLE_1)
	s_or_b32 exec_lo, exec_lo, s6
.LBB0_435:                              ;   in Loop: Header=BB0_39 Depth=1
	s_delay_alu instid0(SALU_CYCLE_1)
	s_or_b32 exec_lo, exec_lo, s5
	s_clause 0x1
	global_load_b64 v[22:23], v9, s[10:11] offset:40
	global_load_b128 v[18:21], v9, s[10:11]
	v_readfirstlane_b32 s12, v16
	v_readfirstlane_b32 s13, v17
	s_mov_b32 s5, exec_lo
	s_wait_loadcnt 0x1
	v_and_b32_e32 v16, s12, v22
	v_and_b32_e32 v17, s13, v23
	s_delay_alu instid0(VALU_DEP_1) | instskip(SKIP_1) | instid1(VALU_DEP_1)
	v_mul_u64_e32 v[22:23], 24, v[16:17]
	s_wait_loadcnt 0x0
	v_add_nc_u64_e32 v[22:23], v[18:19], v[22:23]
	s_wait_xcnt 0x0
	s_and_saveexec_b32 s6, s1
	s_cbranch_execz .LBB0_437
; %bb.436:                              ;   in Loop: Header=BB0_39 Depth=1
	v_mov_b32_e32 v8, s5
	global_store_b128 v[22:23], v[8:11], off offset:8
.LBB0_437:                              ;   in Loop: Header=BB0_39 Depth=1
	s_wait_xcnt 0x0
	s_or_b32 exec_lo, exec_lo, s6
	v_lshlrev_b64_e32 v[16:17], 12, v[16:17]
	s_mov_b32 s6, s4
	s_mov_b32 s7, s4
	;; [unrolled: 1-line block ×3, first 2 shown]
	v_mov_b64_e32 v[26:27], s[6:7]
	v_mov_b64_e32 v[24:25], s[4:5]
	v_and_or_b32 v14, 0xffffff1d, v14, 34
	v_add_nc_u64_e32 v[20:21], v[20:21], v[16:17]
	v_dual_mov_b32 v16, v9 :: v_dual_mov_b32 v17, v9
	s_delay_alu instid0(VALU_DEP_2) | instskip(NEXT) | instid1(VALU_DEP_3)
	v_readfirstlane_b32 s14, v20
	v_readfirstlane_b32 s15, v21
	s_clause 0x3
	global_store_b128 v36, v[14:17], s[14:15]
	global_store_b128 v36, v[24:27], s[14:15] offset:16
	global_store_b128 v36, v[24:27], s[14:15] offset:32
	;; [unrolled: 1-line block ×3, first 2 shown]
	s_wait_xcnt 0x0
	s_and_saveexec_b32 s5, s1
	s_cbranch_execz .LBB0_445
; %bb.438:                              ;   in Loop: Header=BB0_39 Depth=1
	s_clause 0x1
	global_load_b64 v[26:27], v9, s[10:11] offset:32 scope:SCOPE_SYS
	global_load_b64 v[14:15], v9, s[10:11] offset:40
	s_mov_b32 s6, exec_lo
	v_dual_mov_b32 v24, s12 :: v_dual_mov_b32 v25, s13
	s_wait_loadcnt 0x0
	v_and_b32_e32 v15, s13, v15
	v_and_b32_e32 v14, s12, v14
	s_delay_alu instid0(VALU_DEP_1) | instskip(NEXT) | instid1(VALU_DEP_1)
	v_mul_u64_e32 v[14:15], 24, v[14:15]
	v_add_nc_u64_e32 v[18:19], v[18:19], v[14:15]
	global_store_b64 v[18:19], v[26:27], off
	global_wb scope:SCOPE_SYS
	s_wait_storecnt 0x0
	s_wait_xcnt 0x0
	global_atomic_cmpswap_b64 v[16:17], v9, v[24:27], s[10:11] offset:32 th:TH_ATOMIC_RETURN scope:SCOPE_SYS
	s_wait_loadcnt 0x0
	v_cmpx_ne_u64_e64 v[16:17], v[26:27]
	s_cbranch_execz .LBB0_441
; %bb.439:                              ;   in Loop: Header=BB0_39 Depth=1
	s_mov_b32 s7, 0
.LBB0_440:                              ;   Parent Loop BB0_39 Depth=1
                                        ; =>  This Inner Loop Header: Depth=2
	v_dual_mov_b32 v14, s12 :: v_dual_mov_b32 v15, s13
	s_sleep 1
	global_store_b64 v[18:19], v[16:17], off
	global_wb scope:SCOPE_SYS
	s_wait_storecnt 0x0
	s_wait_xcnt 0x0
	global_atomic_cmpswap_b64 v[14:15], v9, v[14:17], s[10:11] offset:32 th:TH_ATOMIC_RETURN scope:SCOPE_SYS
	s_wait_loadcnt 0x0
	v_cmp_eq_u64_e32 vcc_lo, v[14:15], v[16:17]
	v_mov_b64_e32 v[16:17], v[14:15]
	s_or_b32 s7, vcc_lo, s7
	s_delay_alu instid0(SALU_CYCLE_1)
	s_and_not1_b32 exec_lo, exec_lo, s7
	s_cbranch_execnz .LBB0_440
.LBB0_441:                              ;   in Loop: Header=BB0_39 Depth=1
	s_or_b32 exec_lo, exec_lo, s6
	global_load_b64 v[14:15], v9, s[10:11] offset:16
	s_mov_b32 s7, exec_lo
	s_mov_b32 s6, exec_lo
	v_mbcnt_lo_u32_b32 v8, s7, 0
	s_wait_xcnt 0x0
	s_delay_alu instid0(VALU_DEP_1)
	v_cmpx_eq_u32_e32 0, v8
	s_cbranch_execz .LBB0_443
; %bb.442:                              ;   in Loop: Header=BB0_39 Depth=1
	s_bcnt1_i32_b32 s7, s7
	s_delay_alu instid0(SALU_CYCLE_1)
	v_mov_b32_e32 v8, s7
	global_wb scope:SCOPE_SYS
	s_wait_loadcnt 0x0
	s_wait_storecnt 0x0
	global_atomic_add_u64 v[14:15], v[8:9], off offset:8 scope:SCOPE_SYS
.LBB0_443:                              ;   in Loop: Header=BB0_39 Depth=1
	s_wait_xcnt 0x0
	s_or_b32 exec_lo, exec_lo, s6
	s_wait_loadcnt 0x0
	global_load_b64 v[16:17], v[14:15], off offset:16
	s_wait_loadcnt 0x0
	v_cmp_eq_u64_e32 vcc_lo, 0, v[16:17]
	s_cbranch_vccnz .LBB0_445
; %bb.444:                              ;   in Loop: Header=BB0_39 Depth=1
	global_load_b32 v8, v[14:15], off offset:24
	s_wait_loadcnt 0x0
	v_readfirstlane_b32 s6, v8
	global_wb scope:SCOPE_SYS
	s_wait_storecnt 0x0
	s_wait_xcnt 0x0
	global_store_b64 v[16:17], v[8:9], off scope:SCOPE_SYS
	s_and_b32 m0, s6, 0xffffff
	s_sendmsg sendmsg(MSG_INTERRUPT)
.LBB0_445:                              ;   in Loop: Header=BB0_39 Depth=1
	s_wait_xcnt 0x0
	s_or_b32 exec_lo, exec_lo, s5
	s_branch .LBB0_449
.LBB0_446:                              ;   in Loop: Header=BB0_449 Depth=2
	s_wait_xcnt 0x0
	s_or_b32 exec_lo, exec_lo, s5
	s_delay_alu instid0(VALU_DEP_1)
	v_readfirstlane_b32 s5, v8
	s_cmp_eq_u32 s5, 0
	s_cbranch_scc1 .LBB0_448
; %bb.447:                              ;   in Loop: Header=BB0_449 Depth=2
	s_sleep 1
	s_cbranch_execnz .LBB0_449
	s_branch .LBB0_451
.LBB0_448:                              ;   in Loop: Header=BB0_39 Depth=1
	s_branch .LBB0_451
.LBB0_449:                              ;   Parent Loop BB0_39 Depth=1
                                        ; =>  This Inner Loop Header: Depth=2
	v_mov_b32_e32 v8, 1
	s_and_saveexec_b32 s5, s1
	s_cbranch_execz .LBB0_446
; %bb.450:                              ;   in Loop: Header=BB0_449 Depth=2
	global_load_b32 v8, v[22:23], off offset:20 scope:SCOPE_SYS
	s_wait_loadcnt 0x0
	global_inv scope:SCOPE_SYS
	v_and_b32_e32 v8, 1, v8
	s_branch .LBB0_446
.LBB0_451:                              ;   in Loop: Header=BB0_39 Depth=1
	s_and_saveexec_b32 s5, s1
	s_delay_alu instid0(SALU_CYCLE_1)
	s_xor_b32 s1, exec_lo, s5
	s_cbranch_execz .LBB0_456
; %bb.452:                              ;   in Loop: Header=BB0_39 Depth=1
	s_clause 0x2
	global_load_b64 v[14:15], v9, s[10:11] offset:40
	global_load_b64 v[22:23], v9, s[10:11] offset:24 scope:SCOPE_SYS
	global_load_b64 v[16:17], v9, s[10:11]
	s_mov_b32 s5, exec_lo
	s_wait_loadcnt 0x2
	v_readfirstlane_b32 s14, v14
	v_readfirstlane_b32 s15, v15
	s_add_nc_u64 s[6:7], s[14:15], 1
	s_delay_alu instid0(SALU_CYCLE_1) | instskip(NEXT) | instid1(SALU_CYCLE_1)
	s_add_nc_u64 s[12:13], s[6:7], s[12:13]
	s_cmp_eq_u64 s[12:13], 0
	s_cselect_b32 s7, s7, s13
	s_cselect_b32 s6, s6, s12
	s_delay_alu instid0(SALU_CYCLE_1) | instskip(SKIP_1) | instid1(SALU_CYCLE_1)
	v_dual_mov_b32 v21, s7 :: v_dual_mov_b32 v20, s6
	s_and_b64 s[12:13], s[6:7], s[14:15]
	s_mul_u64 s[12:13], s[12:13], 24
	s_wait_loadcnt 0x0
	v_add_nc_u64_e32 v[18:19], s[12:13], v[16:17]
	global_store_b64 v[18:19], v[22:23], off
	global_wb scope:SCOPE_SYS
	s_wait_storecnt 0x0
	s_wait_xcnt 0x0
	global_atomic_cmpswap_b64 v[16:17], v9, v[20:23], s[10:11] offset:24 th:TH_ATOMIC_RETURN scope:SCOPE_SYS
	s_wait_loadcnt 0x0
	v_cmpx_ne_u64_e64 v[16:17], v[22:23]
	s_cbranch_execz .LBB0_455
; %bb.453:                              ;   in Loop: Header=BB0_39 Depth=1
	s_mov_b32 s12, 0
.LBB0_454:                              ;   Parent Loop BB0_39 Depth=1
                                        ; =>  This Inner Loop Header: Depth=2
	v_dual_mov_b32 v14, s6 :: v_dual_mov_b32 v15, s7
	s_sleep 1
	global_store_b64 v[18:19], v[16:17], off
	global_wb scope:SCOPE_SYS
	s_wait_storecnt 0x0
	s_wait_xcnt 0x0
	global_atomic_cmpswap_b64 v[14:15], v9, v[14:17], s[10:11] offset:24 th:TH_ATOMIC_RETURN scope:SCOPE_SYS
	s_wait_loadcnt 0x0
	v_cmp_eq_u64_e32 vcc_lo, v[14:15], v[16:17]
	v_mov_b64_e32 v[16:17], v[14:15]
	s_or_b32 s12, vcc_lo, s12
	s_delay_alu instid0(SALU_CYCLE_1)
	s_and_not1_b32 exec_lo, exec_lo, s12
	s_cbranch_execnz .LBB0_454
.LBB0_455:                              ;   in Loop: Header=BB0_39 Depth=1
	s_or_b32 exec_lo, exec_lo, s5
.LBB0_456:                              ;   in Loop: Header=BB0_39 Depth=1
	s_delay_alu instid0(SALU_CYCLE_1)
	s_or_b32 exec_lo, exec_lo, s1
.LBB0_457:                              ;   in Loop: Header=BB0_39 Depth=1
	s_delay_alu instid0(SALU_CYCLE_1)
	s_mov_b32 s1, exec_lo
	v_mov_b32_e32 v8, v7
.LBB0_458:                              ;   in Loop: Header=BB0_39 Depth=1
	s_or_b32 exec_lo, exec_lo, s24
	s_delay_alu instid0(SALU_CYCLE_1)
	s_or_not1_b32 s1, s1, exec_lo
.LBB0_459:                              ;   in Loop: Header=BB0_39 Depth=1
	s_or_b32 exec_lo, exec_lo, s23
	s_mov_b32 s6, 0
.LBB0_460:                              ;   in Loop: Header=BB0_39 Depth=1
                                        ; implicit-def: $sgpr5
	s_branch .LBB0_38
.LBB0_461:
	v_mad_nc_u64_u32 v[0:1], v51, 56, v[0:1]
	s_wait_loadcnt_dscnt 0x0
	s_wait_kmcnt 0x0
	s_set_pc_i64 s[30:31]
.LBB0_462:
	v_cmp_lt_i32_e32 vcc_lo, 2, v7
	v_mov_b32_e32 v7, v5
	s_and_saveexec_b32 s1, vcc_lo
	s_cbranch_execz .LBB0_464
; %bb.463:
	flat_load_u8 v7, v[8:9] offset:2
	s_wait_loadcnt_dscnt 0x0
	v_lshlrev_b32_e32 v7, 16, v7
	s_delay_alu instid0(VALU_DEP_1)
	v_xor_b32_e32 v7, v7, v5
.LBB0_464:
	s_wait_xcnt 0x0
	s_or_b32 exec_lo, exec_lo, s1
	flat_load_u8 v10, v[8:9] offset:1
	s_mov_b32 s1, exec_lo
	s_wait_loadcnt_dscnt 0x0
	v_lshlrev_b32_e32 v10, 8, v10
	s_delay_alu instid0(VALU_DEP_1)
	v_xor_b32_e32 v10, v10, v7
                                        ; implicit-def: $vgpr7
	s_wait_xcnt 0x0
	s_and_not1_saveexec_b32 s2, s2
	s_cbranch_execz .LBB0_7
.LBB0_465:
	v_cmp_eq_u32_e32 vcc_lo, 1, v7
	v_mov_b32_e32 v10, v5
	s_and_not1_b32 s1, s1, exec_lo
	s_and_b32 s3, vcc_lo, exec_lo
	s_delay_alu instid0(SALU_CYCLE_1)
	s_or_b32 s1, s1, s3
	s_or_b32 exec_lo, exec_lo, s2
	s_and_saveexec_b32 s2, s1
	s_cbranch_execnz .LBB0_8
	s_branch .LBB0_9
.LBB0_466:
	flat_load_u8 v14, v[8:9] offset:2
	s_mov_b32 s2, exec_lo
	s_wait_loadcnt_dscnt 0x0
	v_lshlrev_b32_e32 v14, 16, v14
	s_wait_xcnt 0x0
	s_and_not1_saveexec_b32 s3, s3
	s_cbranch_execz .LBB0_22
.LBB0_467:
	v_cmp_eq_u32_e32 vcc_lo, 2, v7
	v_mov_b32_e32 v14, 0
	s_and_not1_b32 s2, s2, exec_lo
	s_and_b32 s4, vcc_lo, exec_lo
	s_delay_alu instid0(SALU_CYCLE_1)
	s_or_b32 s2, s2, s4
	s_or_b32 exec_lo, exec_lo, s3
	v_mov_b32_e32 v15, 0
	s_and_saveexec_b32 s3, s2
	s_cbranch_execnz .LBB0_23
	s_branch .LBB0_24
.LBB0_468:
	flat_load_u8 v7, v[8:9] offset:1
	s_mov_b32 s2, exec_lo
                                        ; implicit-def: $vgpr10
	s_wait_loadcnt_dscnt 0x0
	v_lshlrev_b32_e32 v7, 8, v7
	s_delay_alu instid0(VALU_DEP_1)
	v_xor_b32_e32 v7, v7, v5
	s_wait_xcnt 0x0
	s_and_not1_saveexec_b32 s3, s3
	s_cbranch_execz .LBB0_26
.LBB0_469:
	v_cmp_eq_u32_e32 vcc_lo, 1, v10
	v_mov_b32_e32 v7, v5
	s_and_not1_b32 s2, s2, exec_lo
	s_and_b32 s4, vcc_lo, exec_lo
	s_delay_alu instid0(SALU_CYCLE_1)
	s_or_b32 s2, s2, s4
	s_or_b32 exec_lo, exec_lo, s3
	s_and_saveexec_b32 s3, s2
	s_cbranch_execnz .LBB0_27
	s_branch .LBB0_28
.LBB0_470:
	flat_load_u8 v7, v[8:9] offset:1
	s_mov_b32 s2, exec_lo
	s_wait_loadcnt_dscnt 0x0
	v_lshlrev_b32_e32 v7, 8, v7
	s_wait_xcnt 0x0
	s_and_not1_saveexec_b32 s3, s3
	s_cbranch_execz .LBB0_32
.LBB0_471:
	v_cmp_eq_u32_e32 vcc_lo, 1, v12
	v_mov_b32_e32 v7, 0
	s_and_not1_b32 s2, s2, exec_lo
	s_and_b32 s4, vcc_lo, exec_lo
	s_delay_alu instid0(SALU_CYCLE_1)
	s_or_b32 s2, s2, s4
	s_or_b32 exec_lo, exec_lo, s3
	s_and_saveexec_b32 s3, s2
	s_cbranch_execnz .LBB0_33
	s_branch .LBB0_34
.Lfunc_end0:
	.size	_Z13ht_get_atomicP6loc_ht9cstr_typej, .Lfunc_end0-_Z13ht_get_atomicP6loc_ht9cstr_typej
                                        ; -- End function
	.set .L_Z13ht_get_atomicP6loc_ht9cstr_typej.num_vgpr, 53
	.set .L_Z13ht_get_atomicP6loc_ht9cstr_typej.num_agpr, 0
	.set .L_Z13ht_get_atomicP6loc_ht9cstr_typej.numbered_sgpr, 32
	.set .L_Z13ht_get_atomicP6loc_ht9cstr_typej.num_named_barrier, 0
	.set .L_Z13ht_get_atomicP6loc_ht9cstr_typej.private_seg_size, 0
	.set .L_Z13ht_get_atomicP6loc_ht9cstr_typej.uses_vcc, 1
	.set .L_Z13ht_get_atomicP6loc_ht9cstr_typej.uses_flat_scratch, 1
	.set .L_Z13ht_get_atomicP6loc_ht9cstr_typej.has_dyn_sized_stack, 0
	.set .L_Z13ht_get_atomicP6loc_ht9cstr_typej.has_recursion, 0
	.set .L_Z13ht_get_atomicP6loc_ht9cstr_typej.has_indirect_call, 0
	.section	.AMDGPU.csdata,"",@progbits
; Function info:
; codeLenInByte = 18012
; TotalNumSgprs: 34
; NumVgprs: 53
; ScratchSize: 0
; MemoryBound: 0
	.section	.text._Z22iterative_walks_kernelILi32EEvPjS0_PcS1_S1_S0_S0_PdP6loc_htS0_P11loc_ht_boolijS0_llliijS1_S1_S0_i,"axG",@progbits,_Z22iterative_walks_kernelILi32EEvPjS0_PcS1_S1_S0_S0_PdP6loc_htS0_P11loc_ht_boolijS0_llliijS1_S1_S0_i,comdat
	.protected	_Z22iterative_walks_kernelILi32EEvPjS0_PcS1_S1_S0_S0_PdP6loc_htS0_P11loc_ht_boolijS0_llliijS1_S1_S0_i ; -- Begin function _Z22iterative_walks_kernelILi32EEvPjS0_PcS1_S1_S0_S0_PdP6loc_htS0_P11loc_ht_boolijS0_llliijS1_S1_S0_i
	.globl	_Z22iterative_walks_kernelILi32EEvPjS0_PcS1_S1_S0_S0_PdP6loc_htS0_P11loc_ht_boolijS0_llliijS1_S1_S0_i
	.p2align	8
	.type	_Z22iterative_walks_kernelILi32EEvPjS0_PcS1_S1_S0_S0_PdP6loc_htS0_P11loc_ht_boolijS0_llliijS1_S1_S0_i,@function
_Z22iterative_walks_kernelILi32EEvPjS0_PcS1_S1_S0_S0_PdP6loc_htS0_P11loc_ht_boolijS0_llliijS1_S1_S0_i: ; @_Z22iterative_walks_kernelILi32EEvPjS0_PcS1_S1_S0_S0_PdP6loc_htS0_P11loc_ht_boolijS0_llliijS1_S1_S0_i
; %bb.0:
	s_clause 0x1
	s_load_b32 s4, s[2:3], 0xbc
	s_load_b32 s5, s[2:3], 0xa8
	s_bfe_u32 s6, ttmp6, 0x4000c
	s_and_b32 s7, ttmp6, 15
	s_add_co_i32 s6, s6, 1
	s_getreg_b32 s8, hwreg(HW_REG_IB_STS2, 6, 4)
	s_mul_i32 s6, ttmp9, s6
	v_and_b32_e32 v1, 0x3ff, v0
	s_add_co_i32 s7, s7, s6
	s_movk_i32 s32, 0x50
	s_wait_kmcnt 0x0
	s_and_b32 s4, s4, 0xffff
	s_cmp_eq_u32 s8, 0
	s_cselect_b32 s6, ttmp9, s7
	s_delay_alu instid0(SALU_CYCLE_1) | instskip(SKIP_1) | instid1(VALU_DEP_1)
	v_mad_u32 v2, s6, s4, v1
	s_mov_b32 s4, exec_lo
	v_lshrrev_b32_e32 v58, 5, v2
	s_delay_alu instid0(VALU_DEP_1)
	v_cmpx_gt_i32_e64 s5, v58
	s_cbranch_execz .LBB1_715
; %bb.1:
	s_clause 0x4
	s_load_b512 s[36:51], s[2:3], 0x8
	s_load_b128 s[4:7], s[2:3], 0x48
	s_load_b64 s[12:13], s[2:3], 0x58
	s_load_b64 s[52:53], s[2:3], 0x70
	s_load_b128 s[8:11], s[2:3], 0x90
	v_dual_mov_b32 v59, 0 :: v_dual_lshlrev_b32 v44, 2, v58
	v_cmp_lt_u32_e64 s25, 31, v2
                                        ; implicit-def: $vgpr53
                                        ; implicit-def: $vgpr43
                                        ; implicit-def: $vgpr60_vgpr61
                                        ; implicit-def: $vgpr62_vgpr63
                                        ; implicit-def: $vgpr66_vgpr67
                                        ; implicit-def: $vgpr68_vgpr69
                                        ; implicit-def: $vgpr64_vgpr65
                                        ; implicit-def: $vgpr42
                                        ; implicit-def: $vgpr40_vgpr41
                                        ; implicit-def: $vgpr70_vgpr71
                                        ; implicit-def: $vgpr2_vgpr3
	s_and_saveexec_b32 s14, s25
	s_delay_alu instid0(SALU_CYCLE_1)
	s_xor_b32 s14, exec_lo, s14
	s_cbranch_execz .LBB1_7
; %bb.2:
	s_wait_kmcnt 0x0
	s_clause 0x1
	global_load_b64 v[4:5], v44, s[46:47] offset:-4
	global_load_b64 v[6:7], v44, s[36:37] offset:-4
	global_load_b64 v[2:3], v58, s[48:49] scale_offset
	v_mov_b64_e32 v[60:61], s[40:41]
	s_wait_loadcnt 0x2
	v_cmp_ne_u32_e32 vcc_lo, 0, v4
	s_wait_xcnt 0x0
	s_and_saveexec_b32 s15, vcc_lo
	s_cbranch_execz .LBB1_4
; %bb.3:
	v_dual_mov_b32 v9, 0 :: v_dual_add_nc_u32 v8, -1, v4
	global_load_b32 v8, v8, s[44:45] scale_offset
	s_wait_loadcnt 0x0
	v_add_nc_u64_e32 v[60:61], s[40:41], v[8:9]
.LBB1_4:
	s_or_b32 exec_lo, exec_lo, s15
	v_mov_b64_e32 v[62:63], s[42:43]
	s_and_saveexec_b32 s15, vcc_lo
	s_cbranch_execz .LBB1_6
; %bb.5:
	v_dual_mov_b32 v9, 0 :: v_dual_add_nc_u32 v8, -1, v4
	global_load_b32 v8, v8, s[44:45] scale_offset
	s_wait_loadcnt 0x0
	v_add_nc_u64_e32 v[62:63], s[42:43], v[8:9]
.LBB1_6:
	s_or_b32 exec_lo, exec_lo, s15
	global_load_b64 v[8:9], v44, s[4:5] offset:-4
	v_mul_u64_e32 v[10:11], s[52:53], v[58:59]
	s_mov_b32 s17, 0
	s_mov_b32 s16, s13
	s_wait_loadcnt 0x2
	v_dual_mov_b32 v13, 0 :: v_dual_mov_b32 v12, v6
	s_add_nc_u64 s[16:17], s[52:53], s[16:17]
	v_dual_sub_nc_u32 v43, v7, v6 :: v_dual_sub_nc_u32 v53, v5, v4
	v_mad_nc_u64_u32 v[66:67], s16, v58, s[10:11]
	s_delay_alu instid0(VALU_DEP_3) | instskip(NEXT) | instid1(VALU_DEP_2)
	v_add_nc_u64_e32 v[70:71], s[38:39], v[12:13]
	v_mad_u32 v67, s17, v58, v67
	v_mad_nc_u64_u32 v[64:65], v10, 24, s[6:7]
	v_add_nc_u64_e32 v[68:69], s[8:9], v[10:11]
	s_delay_alu instid0(VALU_DEP_2)
	v_mad_u32 v65, v11, 24, v65
	s_wait_loadcnt 0x0
	v_mad_nc_u64_u32 v[40:41], v8, 56, s[50:51]
	v_sub_nc_u32_e32 v42, v9, v8
.LBB1_7:
	s_wait_kmcnt 0x0
	s_or_saveexec_b32 s13, s14
	s_load_b64 s[54:55], s[2:3], 0xa0
	s_xor_b32 exec_lo, exec_lo, s13
	s_cbranch_execz .LBB1_9
; %bb.8:
	s_load_b64 s[14:15], s[48:49], 0x0
	s_load_b32 s16, s[4:5], 0x0
	s_load_b32 s17, s[36:37], 0x0
	;; [unrolled: 1-line block ×3, first 2 shown]
	v_mov_b64_e32 v[70:71], s[38:39]
	v_mov_b64_e32 v[40:41], s[50:51]
	;; [unrolled: 1-line block ×7, first 2 shown]
	s_wait_kmcnt 0x0
	v_mov_b64_e32 v[2:3], s[14:15]
	v_dual_mov_b32 v42, s16 :: v_dual_mov_b32 v43, s17
	v_mov_b32_e32 v53, s18
.LBB1_9:
	s_or_b32 exec_lo, exec_lo, s13
	s_delay_alu instid0(VALU_DEP_2) | instskip(SKIP_3) | instid1(VALU_DEP_2)
	v_dual_mov_b32 v4, 0 :: v_dual_min_i32 v59, 0x79, v43
	s_cmp_gt_i32 s12, 20
	v_and_b32_e32 v72, 31, v1
	s_cselect_b32 s4, -1, 0
	v_cmp_le_i32_e32 vcc_lo, s12, v59
	s_and_b32 s4, s4, vcc_lo
	s_delay_alu instid0(SALU_CYCLE_1)
	s_and_saveexec_b32 s37, s4
	s_cbranch_execz .LBB1_713
; %bb.10:
	v_cvt_i32_f64_e32 v2, v[2:3]
	s_load_b32 s58, s[2:3], 0x88
	s_load_b64 s[4:5], s[0:1], 0x4
	v_cvt_f32_u32_e32 v7, v42
	v_dual_mov_b32 v45, 0 :: v_dual_sub_nc_u32 v9, 0, v42
	v_xad_u32 v8, v72, -1, v42
	v_bfe_u32 v6, v0, 10, 10
	s_delay_alu instid0(VALU_DEP_4) | instskip(NEXT) | instid1(VALU_DEP_3)
	v_rcp_iflag_f32_e32 v7, v7
	v_mov_b32_e32 v73, v45
	s_wait_xcnt 0x0
	s_cvt_f32_u32 s0, s52
	v_lshrrev_b32_e32 v10, 5, v8
	v_bfe_u32 v0, v0, 20, 10
	s_get_pc_i64 s[38:39]
	s_add_nc_u64 s[38:39], s[38:39], .str.3@rel64+4
	v_rcp_iflag_f32_e32 v11, s0
	v_dual_mul_f32 v7, 0x4f7ffffe, v7 :: v_dual_add_nc_u32 v10, 1, v10
	s_get_pc_i64 s[48:49]
	s_add_nc_u64 s[48:49], s[48:49], .str.4@rel64+4
	v_add_nc_u64_e32 v[74:75], s[46:47], v[44:45]
	v_cmp_gt_i64_e64 s34, s[52:53], v[72:73]
	v_cvt_u32_f32_e32 v7, v7
	v_and_b32_e32 v96, 0xffffffe, v10
	s_wait_kmcnt 0x0
	v_mul_u32_u24_e32 v6, s5, v6
	s_lshr_b32 s0, s4, 16
	s_cmp_lg_u64 s[38:39], 0
	s_mul_i32 s0, s0, s5
	v_mul_lo_u32 v9, v9, v7
	v_mad_u32 v1, s0, v1, v6
	v_readfirstlane_b32 s0, v11
	s_cselect_b32 s59, -1, 0
	s_cmp_lg_u64 s[48:49], 0
	v_add_nc_u64_e32 v[86:87], 8, v[40:41]
	s_cselect_b32 s63, -1, 0
	v_cvt_f64_i32_e32 v[2:3], v2
	s_mul_f32 s0, s0, 0x4f7ffffe
	s_cmp_gt_i32 s52, 0
	v_mov_b64_e32 v[46:47], 0x100000002
	s_cselect_b32 s64, -1, 0
	v_add_lshl_u32 v97, v1, v0, 4
	v_mul_hi_u32 v0, v7, v9
	s_cvt_u32_f32 s0, s0
	s_sub_co_i32 s1, 0, s52
	v_cmp_lt_u32_e64 s28, v72, v42
	v_cmp_ne_u32_e64 s29, 0, v53
	s_mul_i32 s1, s1, s0
	v_cmp_eq_u32_e64 s33, 0, v72
	v_cmp_lt_u32_e64 s35, 31, v8
	v_lshl_or_b32 v80, v96, 5, v72
	v_mov_b32_e32 v82, v72
	v_cmp_ne_u32_e64 s36, v10, v96
	v_dual_mov_b32 v85, v45 :: v_dual_add_nc_u32 v84, v7, v0
	v_dual_mov_b32 v99, -1 :: v_dual_mov_b32 v102, 0x43
	v_mbcnt_lo_u32_b32 v100, -1, 0
	v_dual_mov_b32 v101, 0x41 :: v_dual_mov_b32 v54, 33
	v_dual_mov_b32 v103, 0x47 :: v_dual_mov_b32 v106, 1
	;; [unrolled: 1-line block ×3, first 2 shown]
	v_mov_b32_e32 v107, v45
	s_mov_b32 s40, 0
	s_mul_hi_u32 s1, s0, s1
	s_add_nc_u64 s[8:9], s[2:3], 0xb0
	v_mul_f64_e32 v[4:5], 0x3fc999999999999a, v[2:3]
	v_mul_f64_e32 v[2:3], 0x3fd3333333333333, v[2:3]
	s_mov_b32 s60, 16
	s_mov_b32 s61, 32
	;; [unrolled: 1-line block ×3, first 2 shown]
	s_add_co_i32 s56, s0, s1
	s_mov_b32 s57, s40
	s_mov_b32 s65, 0
	s_get_pc_i64 s[50:51]
	s_add_nc_u64 s[50:51], s[50:51], _Z13ht_get_atomicP6loc_ht9cstr_typej@rel64+4
	v_dual_mov_b32 v98, 1 :: v_dual_bitop2_b32 v83, 32, v72 bitop3:0x54
	s_delay_alu instid0(VALU_DEP_3) | instskip(NEXT) | instid1(VALU_DEP_3)
	v_max_num_f64_e32 v[76:77], 2.0, v[4:5]
	v_dual_max_num_f64 v[78:79], 2.0, v[2:3] :: v_dual_mov_b32 v4, s12
	s_branch .LBB1_13
.LBB1_11:                               ;   in Loop: Header=BB1_13 Depth=1
	s_or_b32 exec_lo, exec_lo, s2
	s_delay_alu instid0(SALU_CYCLE_1)
	s_or_not1_b32 s4, s0, exec_lo
.LBB1_12:                               ;   in Loop: Header=BB1_13 Depth=1
	s_or_b32 exec_lo, exec_lo, s1
	s_delay_alu instid0(SALU_CYCLE_1) | instskip(NEXT) | instid1(SALU_CYCLE_1)
	s_and_b32 s0, exec_lo, s4
	s_or_b32 s65, s0, s65
	s_delay_alu instid0(SALU_CYCLE_1)
	s_and_not1_b32 exec_lo, exec_lo, s65
	s_cbranch_execz .LBB1_712
.LBB1_13:                               ; =>This Loop Header: Depth=1
                                        ;     Child Loop BB1_16 Depth 2
                                        ;     Child Loop BB1_22 Depth 2
	;; [unrolled: 1-line block ×3, first 2 shown]
                                        ;       Child Loop BB1_41 Depth 3
                                        ;         Child Loop BB1_45 Depth 4
                                        ;         Child Loop BB1_53 Depth 4
	;; [unrolled: 1-line block ×9, first 2 shown]
                                        ;           Child Loop BB1_74 Depth 5
                                        ;           Child Loop BB1_81 Depth 5
	;; [unrolled: 1-line block ×11, first 2 shown]
                                        ;     Child Loop BB1_221 Depth 2
                                        ;       Child Loop BB1_330 Depth 3
                                        ;       Child Loop BB1_338 Depth 3
	;; [unrolled: 1-line block ×9, first 2 shown]
                                        ;         Child Loop BB1_431 Depth 4
                                        ;         Child Loop BB1_438 Depth 4
	;; [unrolled: 1-line block ×11, first 2 shown]
                                        ;     Child Loop BB1_567 Depth 2
                                        ;     Child Loop BB1_570 Depth 2
	;; [unrolled: 1-line block ×3, first 2 shown]
                                        ;       Child Loop BB1_583 Depth 3
                                        ;       Child Loop BB1_602 Depth 3
	;; [unrolled: 1-line block ×3, first 2 shown]
                                        ;         Child Loop BB1_613 Depth 4
                                        ;       Child Loop BB1_627 Depth 3
                                        ;       Child Loop BB1_646 Depth 3
                                        ;       Child Loop BB1_655 Depth 3
                                        ;         Child Loop BB1_657 Depth 4
                                        ;     Child Loop BB1_698 Depth 2
	s_and_saveexec_b32 s0, s28
	s_cbranch_execz .LBB1_23
; %bb.14:                               ;   in Loop: Header=BB1_13 Depth=1
	v_mov_b64_e32 v[0:1], v[72:73]
	v_mov_b32_e32 v5, v72
	s_mov_b32 s2, -1
	s_and_saveexec_b32 s1, s35
	s_cbranch_execz .LBB1_20
; %bb.15:                               ;   in Loop: Header=BB1_13 Depth=1
	v_mov_b64_e32 v[0:1], v[82:83]
	v_mov_b32_e32 v2, v96
	s_mov_b32 s2, 0
.LBB1_16:                               ;   Parent Loop BB1_13 Depth=1
                                        ; =>  This Inner Loop Header: Depth=2
	s_delay_alu instid0(VALU_DEP_1) | instskip(NEXT) | instid1(VALU_DEP_3)
	v_add_nc_u32_e32 v2, -2, v2
	v_mad_nc_u64_u32 v[6:7], v0, 56, v[40:41]
	s_delay_alu instid0(VALU_DEP_4) | instskip(SKIP_1) | instid1(VALU_DEP_4)
	v_mad_nc_u64_u32 v[8:9], v1, 56, v[40:41]
	v_dual_add_nc_u32 v1, 64, v1 :: v_dual_add_nc_u32 v0, 64, v0
	v_cmp_eq_u32_e32 vcc_lo, 0, v2
	s_clause 0x1
	global_store_b32 v[6:7], v99, off offset:8
	global_store_b32 v[8:9], v99, off offset:8
	s_or_b32 s2, vcc_lo, s2
	s_wait_xcnt 0x0
	s_and_not1_b32 exec_lo, exec_lo, s2
	s_cbranch_execnz .LBB1_16
; %bb.17:                               ;   in Loop: Header=BB1_13 Depth=1
	s_or_b32 exec_lo, exec_lo, s2
	s_mov_b32 s2, 0
                                        ; implicit-def: $vgpr0_vgpr1
	s_and_saveexec_b32 s3, s36
; %bb.18:                               ;   in Loop: Header=BB1_13 Depth=1
	v_mov_b32_e32 v81, v45
	s_mov_b32 s2, exec_lo
	s_delay_alu instid0(VALU_DEP_1)
	v_mov_b64_e32 v[0:1], v[80:81]
; %bb.19:                               ;   in Loop: Header=BB1_13 Depth=1
	s_or_b32 exec_lo, exec_lo, s3
	v_mov_b32_e32 v5, v80
	s_or_not1_b32 s2, s2, exec_lo
.LBB1_20:                               ;   in Loop: Header=BB1_13 Depth=1
	s_or_b32 exec_lo, exec_lo, s1
	s_delay_alu instid0(SALU_CYCLE_1)
	s_and_b32 exec_lo, exec_lo, s2
	s_cbranch_execz .LBB1_23
; %bb.21:                               ;   in Loop: Header=BB1_13 Depth=1
	v_mad_nc_u64_u32 v[2:3], v0, 56, v[86:87]
	s_mov_b32 s1, 0
	s_delay_alu instid0(VALU_DEP_1)
	v_mad_u32 v3, v1, 56, v3
.LBB1_22:                               ;   Parent Loop BB1_13 Depth=1
                                        ; =>  This Inner Loop Header: Depth=2
	v_add_nc_u32_e32 v5, 32, v5
	global_store_b32 v[2:3], v99, off
	s_wait_xcnt 0x0
	v_add_nc_u64_e32 v[2:3], 0x700, v[2:3]
	v_cmp_ge_u32_e32 vcc_lo, v5, v42
	s_or_b32 s1, vcc_lo, s1
	s_delay_alu instid0(SALU_CYCLE_1)
	s_and_not1_b32 exec_lo, exec_lo, s1
	s_cbranch_execnz .LBB1_22
.LBB1_23:                               ;   in Loop: Header=BB1_13 Depth=1
	s_or_b32 exec_lo, exec_lo, s0
	s_and_saveexec_b32 s66, s29
	s_cbranch_execz .LBB1_217
; %bb.24:                               ;   in Loop: Header=BB1_13 Depth=1
	v_mov_b32_e32 v88, 0
	s_mov_b32 s67, 0
	s_mov_b32 s68, 0
	s_branch .LBB1_27
.LBB1_25:                               ;   in Loop: Header=BB1_27 Depth=2
	s_or_b32 exec_lo, exec_lo, s70
	v_add_nc_u32_e32 v88, v81, v88
.LBB1_26:                               ;   in Loop: Header=BB1_27 Depth=2
	s_or_b32 exec_lo, exec_lo, s69
	s_add_co_i32 s68, s68, 1
	s_delay_alu instid0(SALU_CYCLE_1) | instskip(SKIP_1) | instid1(SALU_CYCLE_1)
	v_cmp_eq_u32_e32 vcc_lo, s68, v53
	s_or_b32 s67, vcc_lo, s67
	s_and_not1_b32 exec_lo, exec_lo, s67
	s_cbranch_execz .LBB1_217
.LBB1_27:                               ;   Parent Loop BB1_13 Depth=1
                                        ; =>  This Loop Header: Depth=2
                                        ;       Child Loop BB1_41 Depth 3
                                        ;         Child Loop BB1_45 Depth 4
                                        ;         Child Loop BB1_53 Depth 4
	;; [unrolled: 1-line block ×9, first 2 shown]
                                        ;           Child Loop BB1_74 Depth 5
                                        ;           Child Loop BB1_81 Depth 5
                                        ;           Child Loop BB1_88 Depth 5
                                        ;           Child Loop BB1_95 Depth 5
                                        ;           Child Loop BB1_102 Depth 5
                                        ;           Child Loop BB1_109 Depth 5
                                        ;           Child Loop BB1_116 Depth 5
                                        ;           Child Loop BB1_123 Depth 5
                                        ;           Child Loop BB1_131 Depth 5
                                        ;           Child Loop BB1_140 Depth 5
                                        ;           Child Loop BB1_145 Depth 5
	s_cmp_lg_u32 s68, 0
	s_cbranch_scc0 .LBB1_30
; %bb.28:                               ;   in Loop: Header=BB1_27 Depth=2
	global_load_b32 v0, v[74:75], off
	s_wait_loadcnt 0x0
	v_sub_nc_u32_e32 v0, v0, v53
	s_delay_alu instid0(VALU_DEP_1) | instskip(NEXT) | instid1(VALU_DEP_1)
	v_add_nc_u32_e32 v0, s68, v0
	v_add_nc_u32_e32 v1, -1, v0
	s_clause 0x1
	global_load_b32 v2, v0, s[44:45] scale_offset
	global_load_b32 v3, v1, s[44:45] scale_offset
	s_wait_loadcnt 0x0
	v_sub_nc_u32_e32 v81, v2, v3
	s_cbranch_execz .LBB1_31
; %bb.29:                               ;   in Loop: Header=BB1_27 Depth=2
	s_mov_b32 s69, exec_lo
	s_wait_xcnt 0x0
	s_delay_alu instid0(VALU_DEP_1)
	v_cmpx_ge_i32_e64 v81, v4
	s_cbranch_execz .LBB1_26
	s_branch .LBB1_38
.LBB1_30:                               ;   in Loop: Header=BB1_27 Depth=2
                                        ; implicit-def: $vgpr81
.LBB1_31:                               ;   in Loop: Header=BB1_27 Depth=2
                                        ; implicit-def: $vgpr81
	s_wait_xcnt 0x0
	s_and_saveexec_b32 s0, s25
	s_delay_alu instid0(SALU_CYCLE_1)
	s_xor_b32 s0, exec_lo, s0
	s_cbranch_execz .LBB1_35
; %bb.32:                               ;   in Loop: Header=BB1_27 Depth=2
	global_load_b64 v[0:1], v[74:75], off offset:-4
	s_mov_b32 s1, exec_lo
	s_wait_loadcnt 0x0
	v_sub_nc_u32_e32 v1, v1, v53
	global_load_b32 v81, v1, s[44:45] scale_offset
	s_wait_xcnt 0x0
	v_cmpx_ne_u32_e32 0, v0
	s_cbranch_execz .LBB1_34
; %bb.33:                               ;   in Loop: Header=BB1_27 Depth=2
	v_add_nc_u32_e32 v0, -1, v0
	global_load_b32 v0, v0, s[44:45] scale_offset
	s_wait_loadcnt 0x0
	v_sub_nc_u32_e32 v81, v81, v0
.LBB1_34:                               ;   in Loop: Header=BB1_27 Depth=2
	s_wait_xcnt 0x0
	s_or_b32 exec_lo, exec_lo, s1
.LBB1_35:                               ;   in Loop: Header=BB1_27 Depth=2
	s_and_not1_saveexec_b32 s0, s0
	s_cbranch_execz .LBB1_37
; %bb.36:                               ;   in Loop: Header=BB1_27 Depth=2
	global_load_b32 v0, v45, s[46:47]
	s_wait_loadcnt 0x0
	v_sub_nc_u32_e32 v0, v0, v53
	global_load_b32 v81, v0, s[44:45] scale_offset
.LBB1_37:                               ;   in Loop: Header=BB1_27 Depth=2
	s_wait_xcnt 0x0
	s_or_b32 exec_lo, exec_lo, s0
	s_delay_alu instid0(SALU_CYCLE_1)
	s_mov_b32 s69, exec_lo
	s_wait_loadcnt 0x0
	v_cmpx_ge_i32_e64 v81, v4
	s_cbranch_execz .LBB1_26
.LBB1_38:                               ;   in Loop: Header=BB1_27 Depth=2
	v_sub_nc_u32_e32 v108, v81, v4
	s_mov_b32 s70, exec_lo
	s_delay_alu instid0(VALU_DEP_1)
	v_cmpx_lt_i32_e64 v72, v108
	s_cbranch_execz .LBB1_25
; %bb.39:                               ;   in Loop: Header=BB1_27 Depth=2
	v_dual_mov_b32 v89, v45 :: v_dual_mov_b32 v94, v72
	s_mov_b32 s71, 0
	s_delay_alu instid0(VALU_DEP_1)
	v_add_nc_u64_e32 v[90:91], v[60:61], v[88:89]
	v_add_nc_u64_e32 v[92:93], v[62:63], v[88:89]
	s_branch .LBB1_41
.LBB1_40:                               ;   in Loop: Header=BB1_41 Depth=3
	s_wait_xcnt 0x0
	s_or_b32 exec_lo, exec_lo, s0
	v_add_nc_u32_e32 v94, 32, v94
	s_delay_alu instid0(VALU_DEP_1) | instskip(SKIP_1) | instid1(SALU_CYCLE_1)
	v_cmp_ge_i32_e32 vcc_lo, v94, v108
	s_or_b32 s71, vcc_lo, s71
	s_and_not1_b32 exec_lo, exec_lo, s71
	s_cbranch_execz .LBB1_25
.LBB1_41:                               ;   Parent Loop BB1_13 Depth=1
                                        ;     Parent Loop BB1_27 Depth=2
                                        ; =>    This Loop Header: Depth=3
                                        ;         Child Loop BB1_45 Depth 4
                                        ;         Child Loop BB1_53 Depth 4
	;; [unrolled: 1-line block ×9, first 2 shown]
                                        ;           Child Loop BB1_74 Depth 5
                                        ;           Child Loop BB1_81 Depth 5
	;; [unrolled: 1-line block ×11, first 2 shown]
	v_dual_mov_b32 v95, v45 :: v_dual_mov_b32 v0, v40
	v_dual_mov_b32 v1, v41 :: v_dual_mov_b32 v5, v42
	s_delay_alu instid0(VALU_DEP_2) | instskip(SKIP_3) | instid1(VALU_DEP_1)
	v_add_nc_u64_e32 v[2:3], v[90:91], v[94:95]
	s_swap_pc_i64 s[30:31], s[50:51]
	v_add_nc_u32_e32 v2, v94, v4
	s_mov_b32 s16, exec_lo
	v_cmpx_ge_i32_e64 v2, v81
	s_cbranch_execz .LBB1_174
; %bb.42:                               ;   in Loop: Header=BB1_41 Depth=3
	s_load_b64 s[2:3], s[8:9], 0x50
	v_readfirstlane_b32 s0, v100
	v_mov_b64_e32 v[10:11], 0
	s_delay_alu instid0(VALU_DEP_2)
	v_cmp_eq_u32_e64 s0, s0, v100
	s_and_saveexec_b32 s1, s0
	s_cbranch_execz .LBB1_48
; %bb.43:                               ;   in Loop: Header=BB1_41 Depth=3
	s_wait_kmcnt 0x0
	global_load_b64 v[8:9], v45, s[2:3] offset:24 scope:SCOPE_SYS
	s_wait_loadcnt 0x0
	global_inv scope:SCOPE_SYS
	s_clause 0x1
	global_load_b64 v[6:7], v45, s[2:3] offset:40
	global_load_b64 v[10:11], v45, s[2:3]
	s_mov_b32 s4, exec_lo
	s_wait_loadcnt 0x1
	v_and_b32_e32 v6, v6, v8
	v_and_b32_e32 v7, v7, v9
	s_delay_alu instid0(VALU_DEP_1) | instskip(SKIP_1) | instid1(VALU_DEP_1)
	v_mul_u64_e32 v[6:7], 24, v[6:7]
	s_wait_loadcnt 0x0
	v_add_nc_u64_e32 v[6:7], v[10:11], v[6:7]
	global_load_b64 v[6:7], v[6:7], off scope:SCOPE_SYS
	s_wait_xcnt 0x0
	s_wait_loadcnt 0x0
	global_atomic_cmpswap_b64 v[10:11], v45, v[6:9], s[2:3] offset:24 th:TH_ATOMIC_RETURN scope:SCOPE_SYS
	s_wait_loadcnt 0x0
	global_inv scope:SCOPE_SYS
	s_wait_xcnt 0x0
	v_cmpx_ne_u64_e64 v[10:11], v[8:9]
	s_cbranch_execz .LBB1_47
; %bb.44:                               ;   in Loop: Header=BB1_41 Depth=3
	s_mov_b32 s5, 0
.LBB1_45:                               ;   Parent Loop BB1_13 Depth=1
                                        ;     Parent Loop BB1_27 Depth=2
                                        ;       Parent Loop BB1_41 Depth=3
                                        ; =>      This Inner Loop Header: Depth=4
	s_sleep 1
	s_clause 0x1
	global_load_b64 v[6:7], v45, s[2:3] offset:40
	global_load_b64 v[12:13], v45, s[2:3]
	v_mov_b64_e32 v[8:9], v[10:11]
	s_wait_loadcnt 0x1
	s_delay_alu instid0(VALU_DEP_1) | instskip(SKIP_1) | instid1(VALU_DEP_1)
	v_and_b32_e32 v3, v6, v8
	s_wait_loadcnt 0x0
	v_mad_nc_u64_u32 v[10:11], v3, 24, v[12:13]
	s_delay_alu instid0(VALU_DEP_3) | instskip(NEXT) | instid1(VALU_DEP_1)
	v_and_b32_e32 v3, v7, v9
	v_mad_u32 v11, v3, 24, v11
	global_load_b64 v[6:7], v[10:11], off scope:SCOPE_SYS
	s_wait_xcnt 0x0
	s_wait_loadcnt 0x0
	global_atomic_cmpswap_b64 v[10:11], v45, v[6:9], s[2:3] offset:24 th:TH_ATOMIC_RETURN scope:SCOPE_SYS
	s_wait_loadcnt 0x0
	global_inv scope:SCOPE_SYS
	v_cmp_eq_u64_e32 vcc_lo, v[10:11], v[8:9]
	s_or_b32 s5, vcc_lo, s5
	s_wait_xcnt 0x0
	s_and_not1_b32 exec_lo, exec_lo, s5
	s_cbranch_execnz .LBB1_45
; %bb.46:                               ;   in Loop: Header=BB1_41 Depth=3
	s_or_b32 exec_lo, exec_lo, s5
.LBB1_47:                               ;   in Loop: Header=BB1_41 Depth=3
	s_delay_alu instid0(SALU_CYCLE_1)
	s_or_b32 exec_lo, exec_lo, s4
.LBB1_48:                               ;   in Loop: Header=BB1_41 Depth=3
	s_delay_alu instid0(SALU_CYCLE_1)
	s_or_b32 exec_lo, exec_lo, s1
	s_wait_kmcnt 0x0
	s_clause 0x1
	global_load_b64 v[12:13], v45, s[2:3] offset:40
	global_load_b128 v[6:9], v45, s[2:3]
	v_readfirstlane_b32 s4, v10
	v_readfirstlane_b32 s5, v11
	s_mov_b32 s1, exec_lo
	s_wait_loadcnt 0x1
	v_and_b32_e32 v12, s4, v12
	v_and_b32_e32 v13, s5, v13
	s_delay_alu instid0(VALU_DEP_1) | instskip(SKIP_1) | instid1(VALU_DEP_1)
	v_mul_u64_e32 v[10:11], 24, v[12:13]
	s_wait_loadcnt 0x0
	v_add_nc_u64_e32 v[10:11], v[6:7], v[10:11]
	s_wait_xcnt 0x0
	s_and_saveexec_b32 s6, s0
	s_cbranch_execz .LBB1_50
; %bb.49:                               ;   in Loop: Header=BB1_41 Depth=3
	v_mov_b32_e32 v44, s1
	global_store_b128 v[10:11], v[44:47], off offset:8
.LBB1_50:                               ;   in Loop: Header=BB1_41 Depth=3
	s_wait_xcnt 0x0
	s_or_b32 exec_lo, exec_lo, s6
	v_lshlrev_b64_e32 v[12:13], 12, v[12:13]
	s_mov_b32 s41, s40
	s_mov_b32 s42, s40
	;; [unrolled: 1-line block ×3, first 2 shown]
	v_mov_b64_e32 v[14:15], s[40:41]
	v_mov_b64_e32 v[16:17], s[42:43]
	v_dual_mov_b32 v55, v45 :: v_dual_lshlrev_b32 v28, 6, v100
	v_add_nc_u64_e32 v[12:13], v[8:9], v[12:13]
	v_dual_mov_b32 v56, v45 :: v_dual_mov_b32 v57, v45
	s_delay_alu instid0(VALU_DEP_2) | instskip(NEXT) | instid1(VALU_DEP_3)
	v_readfirstlane_b32 s6, v12
	v_readfirstlane_b32 s7, v13
	s_clause 0x3
	global_store_b128 v28, v[54:57], s[6:7]
	global_store_b128 v28, v[14:17], s[6:7] offset:16
	global_store_b128 v28, v[14:17], s[6:7] offset:32
	;; [unrolled: 1-line block ×3, first 2 shown]
	s_wait_xcnt 0x0
	s_and_saveexec_b32 s1, s0
	s_cbranch_execz .LBB1_58
; %bb.51:                               ;   in Loop: Header=BB1_41 Depth=3
	s_clause 0x1
	global_load_b64 v[18:19], v45, s[2:3] offset:32 scope:SCOPE_SYS
	global_load_b64 v[8:9], v45, s[2:3] offset:40
	s_mov_b32 s6, exec_lo
	v_dual_mov_b32 v16, s4 :: v_dual_mov_b32 v17, s5
	s_wait_loadcnt 0x0
	v_and_b32_e32 v9, s5, v9
	v_and_b32_e32 v8, s4, v8
	s_delay_alu instid0(VALU_DEP_1) | instskip(NEXT) | instid1(VALU_DEP_1)
	v_mul_u64_e32 v[8:9], 24, v[8:9]
	v_add_nc_u64_e32 v[14:15], v[6:7], v[8:9]
	global_store_b64 v[14:15], v[18:19], off
	global_wb scope:SCOPE_SYS
	s_wait_storecnt 0x0
	s_wait_xcnt 0x0
	global_atomic_cmpswap_b64 v[8:9], v45, v[16:19], s[2:3] offset:32 th:TH_ATOMIC_RETURN scope:SCOPE_SYS
	s_wait_loadcnt 0x0
	v_cmpx_ne_u64_e64 v[8:9], v[18:19]
	s_cbranch_execz .LBB1_54
; %bb.52:                               ;   in Loop: Header=BB1_41 Depth=3
	s_mov_b32 s7, 0
.LBB1_53:                               ;   Parent Loop BB1_13 Depth=1
                                        ;     Parent Loop BB1_27 Depth=2
                                        ;       Parent Loop BB1_41 Depth=3
                                        ; =>      This Inner Loop Header: Depth=4
	v_dual_mov_b32 v6, s4 :: v_dual_mov_b32 v7, s5
	s_sleep 1
	global_store_b64 v[14:15], v[8:9], off
	global_wb scope:SCOPE_SYS
	s_wait_storecnt 0x0
	s_wait_xcnt 0x0
	global_atomic_cmpswap_b64 v[6:7], v45, v[6:9], s[2:3] offset:32 th:TH_ATOMIC_RETURN scope:SCOPE_SYS
	s_wait_loadcnt 0x0
	v_cmp_eq_u64_e32 vcc_lo, v[6:7], v[8:9]
	v_mov_b64_e32 v[8:9], v[6:7]
	s_or_b32 s7, vcc_lo, s7
	s_delay_alu instid0(SALU_CYCLE_1)
	s_and_not1_b32 exec_lo, exec_lo, s7
	s_cbranch_execnz .LBB1_53
.LBB1_54:                               ;   in Loop: Header=BB1_41 Depth=3
	s_or_b32 exec_lo, exec_lo, s6
	global_load_b64 v[6:7], v45, s[2:3] offset:16
	s_mov_b32 s7, exec_lo
	s_mov_b32 s6, exec_lo
	v_mbcnt_lo_u32_b32 v3, s7, 0
	s_wait_xcnt 0x0
	s_delay_alu instid0(VALU_DEP_1)
	v_cmpx_eq_u32_e32 0, v3
	s_cbranch_execz .LBB1_56
; %bb.55:                               ;   in Loop: Header=BB1_41 Depth=3
	s_bcnt1_i32_b32 s7, s7
	s_delay_alu instid0(SALU_CYCLE_1)
	v_mov_b32_e32 v44, s7
	global_wb scope:SCOPE_SYS
	s_wait_loadcnt 0x0
	s_wait_storecnt 0x0
	global_atomic_add_u64 v[6:7], v[44:45], off offset:8 scope:SCOPE_SYS
.LBB1_56:                               ;   in Loop: Header=BB1_41 Depth=3
	s_wait_xcnt 0x0
	s_or_b32 exec_lo, exec_lo, s6
	s_wait_loadcnt 0x0
	global_load_b64 v[8:9], v[6:7], off offset:16
	s_wait_loadcnt 0x0
	v_cmp_eq_u64_e32 vcc_lo, 0, v[8:9]
	s_cbranch_vccnz .LBB1_58
; %bb.57:                               ;   in Loop: Header=BB1_41 Depth=3
	global_load_b32 v44, v[6:7], off offset:24
	s_wait_loadcnt 0x0
	v_readfirstlane_b32 s6, v44
	global_wb scope:SCOPE_SYS
	s_wait_storecnt 0x0
	s_wait_xcnt 0x0
	global_store_b64 v[8:9], v[44:45], off scope:SCOPE_SYS
	s_and_b32 m0, s6, 0xffffff
	s_sendmsg sendmsg(MSG_INTERRUPT)
.LBB1_58:                               ;   in Loop: Header=BB1_41 Depth=3
	s_wait_xcnt 0x0
	s_or_b32 exec_lo, exec_lo, s1
	v_mov_b32_e32 v29, v45
	s_delay_alu instid0(VALU_DEP_1)
	v_add_nc_u64_e32 v[6:7], v[12:13], v[28:29]
	s_branch .LBB1_62
.LBB1_59:                               ;   in Loop: Header=BB1_62 Depth=4
	s_wait_xcnt 0x0
	s_or_b32 exec_lo, exec_lo, s1
	s_delay_alu instid0(VALU_DEP_1)
	v_readfirstlane_b32 s1, v3
	s_cmp_eq_u32 s1, 0
	s_cbranch_scc1 .LBB1_61
; %bb.60:                               ;   in Loop: Header=BB1_62 Depth=4
	s_sleep 1
	s_cbranch_execnz .LBB1_62
	s_branch .LBB1_64
.LBB1_61:                               ;   in Loop: Header=BB1_41 Depth=3
	s_branch .LBB1_64
.LBB1_62:                               ;   Parent Loop BB1_13 Depth=1
                                        ;     Parent Loop BB1_27 Depth=2
                                        ;       Parent Loop BB1_41 Depth=3
                                        ; =>      This Inner Loop Header: Depth=4
	v_mov_b32_e32 v3, 1
	s_and_saveexec_b32 s1, s0
	s_cbranch_execz .LBB1_59
; %bb.63:                               ;   in Loop: Header=BB1_62 Depth=4
	global_load_b32 v3, v[10:11], off offset:20 scope:SCOPE_SYS
	s_wait_loadcnt 0x0
	global_inv scope:SCOPE_SYS
	v_and_b32_e32 v3, 1, v3
	s_branch .LBB1_59
.LBB1_64:                               ;   in Loop: Header=BB1_41 Depth=3
	global_load_b64 v[6:7], v[6:7], off
	s_wait_xcnt 0x0
	s_and_saveexec_b32 s6, s0
	s_cbranch_execz .LBB1_68
; %bb.65:                               ;   in Loop: Header=BB1_41 Depth=3
	s_clause 0x2
	global_load_b64 v[8:9], v45, s[2:3] offset:40
	global_load_b64 v[16:17], v45, s[2:3] offset:24 scope:SCOPE_SYS
	global_load_b64 v[10:11], v45, s[2:3]
	s_wait_loadcnt 0x2
	v_readfirstlane_b32 s10, v8
	v_readfirstlane_b32 s11, v9
	s_add_nc_u64 s[0:1], s[10:11], 1
	s_delay_alu instid0(SALU_CYCLE_1) | instskip(NEXT) | instid1(SALU_CYCLE_1)
	s_add_nc_u64 s[4:5], s[0:1], s[4:5]
	s_cmp_eq_u64 s[4:5], 0
	s_cselect_b32 s1, s1, s5
	s_cselect_b32 s0, s0, s4
	s_delay_alu instid0(SALU_CYCLE_1) | instskip(SKIP_1) | instid1(SALU_CYCLE_1)
	v_dual_mov_b32 v15, s1 :: v_dual_mov_b32 v14, s0
	s_and_b64 s[4:5], s[0:1], s[10:11]
	s_mul_u64 s[4:5], s[4:5], 24
	s_wait_loadcnt 0x0
	v_add_nc_u64_e32 v[12:13], s[4:5], v[10:11]
	global_store_b64 v[12:13], v[16:17], off
	global_wb scope:SCOPE_SYS
	s_wait_storecnt 0x0
	s_wait_xcnt 0x0
	global_atomic_cmpswap_b64 v[10:11], v45, v[14:17], s[2:3] offset:24 th:TH_ATOMIC_RETURN scope:SCOPE_SYS
	s_wait_loadcnt 0x0
	v_cmp_ne_u64_e32 vcc_lo, v[10:11], v[16:17]
	s_and_b32 exec_lo, exec_lo, vcc_lo
	s_cbranch_execz .LBB1_68
; %bb.66:                               ;   in Loop: Header=BB1_41 Depth=3
	s_mov_b32 s4, 0
.LBB1_67:                               ;   Parent Loop BB1_13 Depth=1
                                        ;     Parent Loop BB1_27 Depth=2
                                        ;       Parent Loop BB1_41 Depth=3
                                        ; =>      This Inner Loop Header: Depth=4
	v_dual_mov_b32 v8, s0 :: v_dual_mov_b32 v9, s1
	s_sleep 1
	global_store_b64 v[12:13], v[10:11], off
	global_wb scope:SCOPE_SYS
	s_wait_storecnt 0x0
	s_wait_xcnt 0x0
	global_atomic_cmpswap_b64 v[8:9], v45, v[8:11], s[2:3] offset:24 th:TH_ATOMIC_RETURN scope:SCOPE_SYS
	s_wait_loadcnt 0x0
	v_cmp_eq_u64_e32 vcc_lo, v[8:9], v[10:11]
	v_mov_b64_e32 v[10:11], v[8:9]
	s_or_b32 s4, vcc_lo, s4
	s_delay_alu instid0(SALU_CYCLE_1)
	s_and_not1_b32 exec_lo, exec_lo, s4
	s_cbranch_execnz .LBB1_67
.LBB1_68:                               ;   in Loop: Header=BB1_41 Depth=3
	s_or_b32 exec_lo, exec_lo, s6
	s_delay_alu instid0(SALU_CYCLE_1)
	s_and_b32 vcc_lo, exec_lo, s59
	s_cbranch_vccz .LBB1_147
; %bb.69:                               ;   in Loop: Header=BB1_41 Depth=3
	s_wait_loadcnt 0x0
	v_dual_mov_b32 v9, v7 :: v_dual_bitop2_b32 v8, -3, v6 bitop3:0x40
	s_mov_b64 s[4:5], 45
	s_mov_b64 s[6:7], s[38:39]
	s_branch .LBB1_71
.LBB1_70:                               ;   in Loop: Header=BB1_71 Depth=4
	s_or_b32 exec_lo, exec_lo, s14
	s_sub_nc_u64 s[4:5], s[4:5], s[10:11]
	s_add_nc_u64 s[6:7], s[6:7], s[10:11]
	s_cmp_lg_u64 s[4:5], 0
	s_cbranch_scc0 .LBB1_146
.LBB1_71:                               ;   Parent Loop BB1_13 Depth=1
                                        ;     Parent Loop BB1_27 Depth=2
                                        ;       Parent Loop BB1_41 Depth=3
                                        ; =>      This Loop Header: Depth=4
                                        ;           Child Loop BB1_74 Depth 5
                                        ;           Child Loop BB1_81 Depth 5
	;; [unrolled: 1-line block ×11, first 2 shown]
	s_wait_loadcnt 0x0
	v_min_u64 v[10:11], s[4:5], 56
	v_cmp_gt_u64_e64 s0, s[4:5], 7
	s_and_b32 vcc_lo, exec_lo, s0
	v_readfirstlane_b32 s10, v10
	v_readfirstlane_b32 s11, v11
	s_cbranch_vccnz .LBB1_76
; %bb.72:                               ;   in Loop: Header=BB1_71 Depth=4
	v_mov_b64_e32 v[10:11], 0
	s_cmp_eq_u64 s[4:5], 0
	s_cbranch_scc1 .LBB1_75
; %bb.73:                               ;   in Loop: Header=BB1_71 Depth=4
	s_mov_b64 s[0:1], 0
	s_mov_b64 s[12:13], 0
.LBB1_74:                               ;   Parent Loop BB1_13 Depth=1
                                        ;     Parent Loop BB1_27 Depth=2
                                        ;       Parent Loop BB1_41 Depth=3
                                        ;         Parent Loop BB1_71 Depth=4
                                        ; =>        This Inner Loop Header: Depth=5
	s_wait_xcnt 0x0
	s_add_nc_u64 s[14:15], s[6:7], s[12:13]
	s_add_nc_u64 s[12:13], s[12:13], 1
	global_load_u8 v3, v45, s[14:15]
	s_cmp_lg_u32 s10, s12
	s_wait_loadcnt 0x0
	v_and_b32_e32 v44, 0xffff, v3
	s_delay_alu instid0(VALU_DEP_1) | instskip(SKIP_1) | instid1(VALU_DEP_1)
	v_lshlrev_b64_e32 v[12:13], s0, v[44:45]
	s_add_nc_u64 s[0:1], s[0:1], 8
	v_or_b32_e32 v10, v12, v10
	s_delay_alu instid0(VALU_DEP_2)
	v_or_b32_e32 v11, v13, v11
	s_cbranch_scc1 .LBB1_74
.LBB1_75:                               ;   in Loop: Header=BB1_71 Depth=4
	s_mov_b64 s[0:1], s[6:7]
	s_mov_b32 s17, 0
	s_cbranch_execz .LBB1_77
	s_branch .LBB1_78
.LBB1_76:                               ;   in Loop: Header=BB1_71 Depth=4
	s_add_nc_u64 s[0:1], s[6:7], 8
	s_mov_b32 s17, 0
.LBB1_77:                               ;   in Loop: Header=BB1_71 Depth=4
	global_load_b64 v[10:11], v45, s[6:7]
	s_add_co_i32 s17, s10, -8
.LBB1_78:                               ;   in Loop: Header=BB1_71 Depth=4
	s_delay_alu instid0(SALU_CYCLE_1)
	s_cmp_gt_u32 s17, 7
	s_cbranch_scc1 .LBB1_83
; %bb.79:                               ;   in Loop: Header=BB1_71 Depth=4
	v_mov_b64_e32 v[12:13], 0
	s_cmp_eq_u32 s17, 0
	s_cbranch_scc1 .LBB1_82
; %bb.80:                               ;   in Loop: Header=BB1_71 Depth=4
	s_mov_b64 s[12:13], 0
	s_wait_xcnt 0x0
	s_mov_b64 s[14:15], 0
.LBB1_81:                               ;   Parent Loop BB1_13 Depth=1
                                        ;     Parent Loop BB1_27 Depth=2
                                        ;       Parent Loop BB1_41 Depth=3
                                        ;         Parent Loop BB1_71 Depth=4
                                        ; =>        This Inner Loop Header: Depth=5
	s_wait_xcnt 0x0
	s_add_nc_u64 s[18:19], s[0:1], s[14:15]
	s_add_nc_u64 s[14:15], s[14:15], 1
	global_load_u8 v3, v45, s[18:19]
	s_cmp_lg_u32 s17, s14
	s_wait_loadcnt 0x0
	v_and_b32_e32 v44, 0xffff, v3
	s_delay_alu instid0(VALU_DEP_1) | instskip(SKIP_1) | instid1(VALU_DEP_1)
	v_lshlrev_b64_e32 v[14:15], s12, v[44:45]
	s_add_nc_u64 s[12:13], s[12:13], 8
	v_or_b32_e32 v12, v14, v12
	s_delay_alu instid0(VALU_DEP_2)
	v_or_b32_e32 v13, v15, v13
	s_cbranch_scc1 .LBB1_81
.LBB1_82:                               ;   in Loop: Header=BB1_71 Depth=4
	s_wait_xcnt 0x0
	s_mov_b64 s[12:13], s[0:1]
	s_mov_b32 s18, 0
	s_cbranch_execz .LBB1_84
	s_branch .LBB1_85
.LBB1_83:                               ;   in Loop: Header=BB1_71 Depth=4
	s_add_nc_u64 s[12:13], s[0:1], 8
	s_wait_xcnt 0x0
                                        ; implicit-def: $vgpr12_vgpr13
	s_mov_b32 s18, 0
.LBB1_84:                               ;   in Loop: Header=BB1_71 Depth=4
	global_load_b64 v[12:13], v45, s[0:1]
	s_add_co_i32 s18, s17, -8
.LBB1_85:                               ;   in Loop: Header=BB1_71 Depth=4
	s_delay_alu instid0(SALU_CYCLE_1)
	s_cmp_gt_u32 s18, 7
	s_cbranch_scc1 .LBB1_90
; %bb.86:                               ;   in Loop: Header=BB1_71 Depth=4
	v_mov_b64_e32 v[14:15], 0
	s_cmp_eq_u32 s18, 0
	s_cbranch_scc1 .LBB1_89
; %bb.87:                               ;   in Loop: Header=BB1_71 Depth=4
	s_wait_xcnt 0x0
	s_mov_b64 s[0:1], 0
	s_mov_b64 s[14:15], 0
.LBB1_88:                               ;   Parent Loop BB1_13 Depth=1
                                        ;     Parent Loop BB1_27 Depth=2
                                        ;       Parent Loop BB1_41 Depth=3
                                        ;         Parent Loop BB1_71 Depth=4
                                        ; =>        This Inner Loop Header: Depth=5
	s_wait_xcnt 0x0
	s_add_nc_u64 s[20:21], s[12:13], s[14:15]
	s_add_nc_u64 s[14:15], s[14:15], 1
	global_load_u8 v3, v45, s[20:21]
	s_cmp_lg_u32 s18, s14
	s_wait_loadcnt 0x0
	v_and_b32_e32 v44, 0xffff, v3
	s_delay_alu instid0(VALU_DEP_1) | instskip(SKIP_1) | instid1(VALU_DEP_1)
	v_lshlrev_b64_e32 v[16:17], s0, v[44:45]
	s_add_nc_u64 s[0:1], s[0:1], 8
	v_or_b32_e32 v14, v16, v14
	s_delay_alu instid0(VALU_DEP_2)
	v_or_b32_e32 v15, v17, v15
	s_cbranch_scc1 .LBB1_88
.LBB1_89:                               ;   in Loop: Header=BB1_71 Depth=4
	s_wait_xcnt 0x0
	s_mov_b64 s[0:1], s[12:13]
	s_mov_b32 s17, 0
	s_cbranch_execz .LBB1_91
	s_branch .LBB1_92
.LBB1_90:                               ;   in Loop: Header=BB1_71 Depth=4
	s_wait_xcnt 0x0
	s_add_nc_u64 s[0:1], s[12:13], 8
	s_mov_b32 s17, 0
.LBB1_91:                               ;   in Loop: Header=BB1_71 Depth=4
	global_load_b64 v[14:15], v45, s[12:13]
	s_add_co_i32 s17, s18, -8
.LBB1_92:                               ;   in Loop: Header=BB1_71 Depth=4
	s_delay_alu instid0(SALU_CYCLE_1)
	s_cmp_gt_u32 s17, 7
	s_cbranch_scc1 .LBB1_97
; %bb.93:                               ;   in Loop: Header=BB1_71 Depth=4
	v_mov_b64_e32 v[16:17], 0
	s_cmp_eq_u32 s17, 0
	s_cbranch_scc1 .LBB1_96
; %bb.94:                               ;   in Loop: Header=BB1_71 Depth=4
	s_wait_xcnt 0x0
	s_mov_b64 s[12:13], 0
	s_mov_b64 s[14:15], 0
.LBB1_95:                               ;   Parent Loop BB1_13 Depth=1
                                        ;     Parent Loop BB1_27 Depth=2
                                        ;       Parent Loop BB1_41 Depth=3
                                        ;         Parent Loop BB1_71 Depth=4
                                        ; =>        This Inner Loop Header: Depth=5
	s_wait_xcnt 0x0
	s_add_nc_u64 s[18:19], s[0:1], s[14:15]
	s_add_nc_u64 s[14:15], s[14:15], 1
	global_load_u8 v3, v45, s[18:19]
	s_cmp_lg_u32 s17, s14
	s_wait_loadcnt 0x0
	v_and_b32_e32 v44, 0xffff, v3
	s_delay_alu instid0(VALU_DEP_1) | instskip(SKIP_1) | instid1(VALU_DEP_1)
	v_lshlrev_b64_e32 v[18:19], s12, v[44:45]
	s_add_nc_u64 s[12:13], s[12:13], 8
	v_or_b32_e32 v16, v18, v16
	s_delay_alu instid0(VALU_DEP_2)
	v_or_b32_e32 v17, v19, v17
	s_cbranch_scc1 .LBB1_95
.LBB1_96:                               ;   in Loop: Header=BB1_71 Depth=4
	s_wait_xcnt 0x0
	s_mov_b64 s[12:13], s[0:1]
	s_mov_b32 s18, 0
	s_cbranch_execz .LBB1_98
	s_branch .LBB1_99
.LBB1_97:                               ;   in Loop: Header=BB1_71 Depth=4
	s_wait_xcnt 0x0
	s_add_nc_u64 s[12:13], s[0:1], 8
                                        ; implicit-def: $vgpr16_vgpr17
	s_mov_b32 s18, 0
.LBB1_98:                               ;   in Loop: Header=BB1_71 Depth=4
	global_load_b64 v[16:17], v45, s[0:1]
	s_add_co_i32 s18, s17, -8
.LBB1_99:                               ;   in Loop: Header=BB1_71 Depth=4
	s_delay_alu instid0(SALU_CYCLE_1)
	s_cmp_gt_u32 s18, 7
	s_cbranch_scc1 .LBB1_104
; %bb.100:                              ;   in Loop: Header=BB1_71 Depth=4
	v_mov_b64_e32 v[18:19], 0
	s_cmp_eq_u32 s18, 0
	s_cbranch_scc1 .LBB1_103
; %bb.101:                              ;   in Loop: Header=BB1_71 Depth=4
	s_wait_xcnt 0x0
	s_mov_b64 s[0:1], 0
	s_mov_b64 s[14:15], 0
.LBB1_102:                              ;   Parent Loop BB1_13 Depth=1
                                        ;     Parent Loop BB1_27 Depth=2
                                        ;       Parent Loop BB1_41 Depth=3
                                        ;         Parent Loop BB1_71 Depth=4
                                        ; =>        This Inner Loop Header: Depth=5
	s_wait_xcnt 0x0
	s_add_nc_u64 s[20:21], s[12:13], s[14:15]
	s_add_nc_u64 s[14:15], s[14:15], 1
	global_load_u8 v3, v45, s[20:21]
	s_cmp_lg_u32 s18, s14
	s_wait_loadcnt 0x0
	v_and_b32_e32 v44, 0xffff, v3
	s_delay_alu instid0(VALU_DEP_1) | instskip(SKIP_1) | instid1(VALU_DEP_1)
	v_lshlrev_b64_e32 v[20:21], s0, v[44:45]
	s_add_nc_u64 s[0:1], s[0:1], 8
	v_or_b32_e32 v18, v20, v18
	s_delay_alu instid0(VALU_DEP_2)
	v_or_b32_e32 v19, v21, v19
	s_cbranch_scc1 .LBB1_102
.LBB1_103:                              ;   in Loop: Header=BB1_71 Depth=4
	s_wait_xcnt 0x0
	s_mov_b64 s[0:1], s[12:13]
	s_mov_b32 s17, 0
	s_cbranch_execz .LBB1_105
	s_branch .LBB1_106
.LBB1_104:                              ;   in Loop: Header=BB1_71 Depth=4
	s_wait_xcnt 0x0
	s_add_nc_u64 s[0:1], s[12:13], 8
	s_mov_b32 s17, 0
.LBB1_105:                              ;   in Loop: Header=BB1_71 Depth=4
	global_load_b64 v[18:19], v45, s[12:13]
	s_add_co_i32 s17, s18, -8
.LBB1_106:                              ;   in Loop: Header=BB1_71 Depth=4
	s_delay_alu instid0(SALU_CYCLE_1)
	s_cmp_gt_u32 s17, 7
	s_cbranch_scc1 .LBB1_111
; %bb.107:                              ;   in Loop: Header=BB1_71 Depth=4
	v_mov_b64_e32 v[20:21], 0
	s_cmp_eq_u32 s17, 0
	s_cbranch_scc1 .LBB1_110
; %bb.108:                              ;   in Loop: Header=BB1_71 Depth=4
	s_wait_xcnt 0x0
	s_mov_b64 s[12:13], 0
	s_mov_b64 s[14:15], 0
.LBB1_109:                              ;   Parent Loop BB1_13 Depth=1
                                        ;     Parent Loop BB1_27 Depth=2
                                        ;       Parent Loop BB1_41 Depth=3
                                        ;         Parent Loop BB1_71 Depth=4
                                        ; =>        This Inner Loop Header: Depth=5
	s_wait_xcnt 0x0
	s_add_nc_u64 s[18:19], s[0:1], s[14:15]
	s_add_nc_u64 s[14:15], s[14:15], 1
	global_load_u8 v3, v45, s[18:19]
	s_cmp_lg_u32 s17, s14
	s_wait_loadcnt 0x0
	v_and_b32_e32 v44, 0xffff, v3
	s_delay_alu instid0(VALU_DEP_1) | instskip(SKIP_1) | instid1(VALU_DEP_1)
	v_lshlrev_b64_e32 v[22:23], s12, v[44:45]
	s_add_nc_u64 s[12:13], s[12:13], 8
	v_or_b32_e32 v20, v22, v20
	s_delay_alu instid0(VALU_DEP_2)
	v_or_b32_e32 v21, v23, v21
	s_cbranch_scc1 .LBB1_109
.LBB1_110:                              ;   in Loop: Header=BB1_71 Depth=4
	s_wait_xcnt 0x0
	s_mov_b64 s[12:13], s[0:1]
	s_mov_b32 s18, 0
	s_cbranch_execz .LBB1_112
	s_branch .LBB1_113
.LBB1_111:                              ;   in Loop: Header=BB1_71 Depth=4
	s_wait_xcnt 0x0
	s_add_nc_u64 s[12:13], s[0:1], 8
                                        ; implicit-def: $vgpr20_vgpr21
	s_mov_b32 s18, 0
.LBB1_112:                              ;   in Loop: Header=BB1_71 Depth=4
	global_load_b64 v[20:21], v45, s[0:1]
	s_add_co_i32 s18, s17, -8
.LBB1_113:                              ;   in Loop: Header=BB1_71 Depth=4
	s_delay_alu instid0(SALU_CYCLE_1)
	s_cmp_gt_u32 s18, 7
	s_cbranch_scc1 .LBB1_118
; %bb.114:                              ;   in Loop: Header=BB1_71 Depth=4
	v_mov_b64_e32 v[22:23], 0
	s_cmp_eq_u32 s18, 0
	s_cbranch_scc1 .LBB1_117
; %bb.115:                              ;   in Loop: Header=BB1_71 Depth=4
	s_wait_xcnt 0x0
	s_mov_b64 s[0:1], 0
	s_mov_b64 s[14:15], s[12:13]
.LBB1_116:                              ;   Parent Loop BB1_13 Depth=1
                                        ;     Parent Loop BB1_27 Depth=2
                                        ;       Parent Loop BB1_41 Depth=3
                                        ;         Parent Loop BB1_71 Depth=4
                                        ; =>        This Inner Loop Header: Depth=5
	global_load_u8 v3, v45, s[14:15]
	s_add_co_i32 s18, s18, -1
	s_wait_xcnt 0x0
	s_add_nc_u64 s[14:15], s[14:15], 1
	s_cmp_lg_u32 s18, 0
	s_wait_loadcnt 0x0
	v_and_b32_e32 v44, 0xffff, v3
	s_delay_alu instid0(VALU_DEP_1) | instskip(SKIP_1) | instid1(VALU_DEP_1)
	v_lshlrev_b64_e32 v[24:25], s0, v[44:45]
	s_add_nc_u64 s[0:1], s[0:1], 8
	v_or_b32_e32 v22, v24, v22
	s_delay_alu instid0(VALU_DEP_2)
	v_or_b32_e32 v23, v25, v23
	s_cbranch_scc1 .LBB1_116
.LBB1_117:                              ;   in Loop: Header=BB1_71 Depth=4
	s_wait_xcnt 0x0
	s_cbranch_execz .LBB1_119
	s_branch .LBB1_120
.LBB1_118:                              ;   in Loop: Header=BB1_71 Depth=4
	s_wait_xcnt 0x0
.LBB1_119:                              ;   in Loop: Header=BB1_71 Depth=4
	global_load_b64 v[22:23], v45, s[12:13]
.LBB1_120:                              ;   in Loop: Header=BB1_71 Depth=4
	v_readfirstlane_b32 s0, v100
	v_mov_b64_e32 v[30:31], 0
	s_delay_alu instid0(VALU_DEP_2)
	v_cmp_eq_u32_e64 s0, s0, v100
	s_wait_xcnt 0x0
	s_and_saveexec_b32 s1, s0
	s_cbranch_execz .LBB1_126
; %bb.121:                              ;   in Loop: Header=BB1_71 Depth=4
	global_load_b64 v[26:27], v45, s[2:3] offset:24 scope:SCOPE_SYS
	s_wait_loadcnt 0x0
	global_inv scope:SCOPE_SYS
	s_clause 0x1
	global_load_b64 v[24:25], v45, s[2:3] offset:40
	global_load_b64 v[30:31], v45, s[2:3]
	s_mov_b32 s12, exec_lo
	s_wait_loadcnt 0x1
	v_and_b32_e32 v24, v24, v26
	v_and_b32_e32 v25, v25, v27
	s_delay_alu instid0(VALU_DEP_1) | instskip(SKIP_1) | instid1(VALU_DEP_1)
	v_mul_u64_e32 v[24:25], 24, v[24:25]
	s_wait_loadcnt 0x0
	v_add_nc_u64_e32 v[24:25], v[30:31], v[24:25]
	global_load_b64 v[24:25], v[24:25], off scope:SCOPE_SYS
	s_wait_xcnt 0x0
	s_wait_loadcnt 0x0
	global_atomic_cmpswap_b64 v[30:31], v45, v[24:27], s[2:3] offset:24 th:TH_ATOMIC_RETURN scope:SCOPE_SYS
	s_wait_loadcnt 0x0
	global_inv scope:SCOPE_SYS
	s_wait_xcnt 0x0
	v_cmpx_ne_u64_e64 v[30:31], v[26:27]
	s_cbranch_execz .LBB1_125
; %bb.122:                              ;   in Loop: Header=BB1_71 Depth=4
	s_mov_b32 s13, 0
.LBB1_123:                              ;   Parent Loop BB1_13 Depth=1
                                        ;     Parent Loop BB1_27 Depth=2
                                        ;       Parent Loop BB1_41 Depth=3
                                        ;         Parent Loop BB1_71 Depth=4
                                        ; =>        This Inner Loop Header: Depth=5
	s_sleep 1
	s_clause 0x1
	global_load_b64 v[24:25], v45, s[2:3] offset:40
	global_load_b64 v[32:33], v45, s[2:3]
	v_mov_b64_e32 v[26:27], v[30:31]
	s_wait_loadcnt 0x1
	s_delay_alu instid0(VALU_DEP_1) | instskip(SKIP_1) | instid1(VALU_DEP_1)
	v_and_b32_e32 v3, v24, v26
	s_wait_loadcnt 0x0
	v_mad_nc_u64_u32 v[30:31], v3, 24, v[32:33]
	s_delay_alu instid0(VALU_DEP_3) | instskip(NEXT) | instid1(VALU_DEP_1)
	v_and_b32_e32 v3, v25, v27
	v_mad_u32 v31, v3, 24, v31
	global_load_b64 v[24:25], v[30:31], off scope:SCOPE_SYS
	s_wait_xcnt 0x0
	s_wait_loadcnt 0x0
	global_atomic_cmpswap_b64 v[30:31], v45, v[24:27], s[2:3] offset:24 th:TH_ATOMIC_RETURN scope:SCOPE_SYS
	s_wait_loadcnt 0x0
	global_inv scope:SCOPE_SYS
	v_cmp_eq_u64_e32 vcc_lo, v[30:31], v[26:27]
	s_or_b32 s13, vcc_lo, s13
	s_wait_xcnt 0x0
	s_and_not1_b32 exec_lo, exec_lo, s13
	s_cbranch_execnz .LBB1_123
; %bb.124:                              ;   in Loop: Header=BB1_71 Depth=4
	s_or_b32 exec_lo, exec_lo, s13
.LBB1_125:                              ;   in Loop: Header=BB1_71 Depth=4
	s_delay_alu instid0(SALU_CYCLE_1)
	s_or_b32 exec_lo, exec_lo, s12
.LBB1_126:                              ;   in Loop: Header=BB1_71 Depth=4
	s_delay_alu instid0(SALU_CYCLE_1)
	s_or_b32 exec_lo, exec_lo, s1
	s_clause 0x1
	global_load_b64 v[32:33], v45, s[2:3] offset:40
	global_load_b128 v[24:27], v45, s[2:3]
	v_readfirstlane_b32 s12, v30
	v_readfirstlane_b32 s13, v31
	s_mov_b32 s1, exec_lo
	s_wait_loadcnt 0x1
	v_and_b32_e32 v32, s12, v32
	v_and_b32_e32 v33, s13, v33
	s_delay_alu instid0(VALU_DEP_1) | instskip(SKIP_1) | instid1(VALU_DEP_1)
	v_mul_u64_e32 v[30:31], 24, v[32:33]
	s_wait_loadcnt 0x0
	v_add_nc_u64_e32 v[30:31], v[24:25], v[30:31]
	s_wait_xcnt 0x0
	s_and_saveexec_b32 s14, s0
	s_cbranch_execz .LBB1_128
; %bb.127:                              ;   in Loop: Header=BB1_71 Depth=4
	v_mov_b32_e32 v44, s1
	global_store_b128 v[30:31], v[44:47], off offset:8
.LBB1_128:                              ;   in Loop: Header=BB1_71 Depth=4
	s_wait_xcnt 0x0
	s_or_b32 exec_lo, exec_lo, s14
	v_cmp_gt_u64_e64 s1, s[4:5], 56
	v_lshlrev_b64_e32 v[32:33], 12, v[32:33]
	v_and_b32_e32 v3, 0xffffff1f, v8
	s_and_b32 s1, s1, exec_lo
	s_delay_alu instid0(VALU_DEP_2) | instskip(SKIP_4) | instid1(VALU_DEP_2)
	v_add_nc_u64_e32 v[26:27], v[26:27], v[32:33]
	s_cselect_b32 s1, 0, 2
	s_lshl_b32 s14, s10, 2
	v_or_b32_e32 v3, s1, v3
	s_add_co_i32 s1, s14, 28
	v_readfirstlane_b32 s14, v26
	s_delay_alu instid0(VALU_DEP_3) | instskip(NEXT) | instid1(VALU_DEP_3)
	v_readfirstlane_b32 s15, v27
	v_and_or_b32 v8, 0x1e0, s1, v3
	s_clause 0x3
	global_store_b128 v28, v[8:11], s[14:15]
	global_store_b128 v28, v[12:15], s[14:15] offset:16
	global_store_b128 v28, v[16:19], s[14:15] offset:32
	;; [unrolled: 1-line block ×3, first 2 shown]
	s_wait_xcnt 0x0
	s_and_saveexec_b32 s1, s0
	s_cbranch_execz .LBB1_136
; %bb.129:                              ;   in Loop: Header=BB1_71 Depth=4
	s_clause 0x1
	global_load_b64 v[16:17], v45, s[2:3] offset:32 scope:SCOPE_SYS
	global_load_b64 v[8:9], v45, s[2:3] offset:40
	s_mov_b32 s14, exec_lo
	v_dual_mov_b32 v14, s12 :: v_dual_mov_b32 v15, s13
	s_wait_loadcnt 0x0
	v_and_b32_e32 v9, s13, v9
	v_and_b32_e32 v8, s12, v8
	s_delay_alu instid0(VALU_DEP_1) | instskip(NEXT) | instid1(VALU_DEP_1)
	v_mul_u64_e32 v[8:9], 24, v[8:9]
	v_add_nc_u64_e32 v[12:13], v[24:25], v[8:9]
	global_store_b64 v[12:13], v[16:17], off
	global_wb scope:SCOPE_SYS
	s_wait_storecnt 0x0
	s_wait_xcnt 0x0
	global_atomic_cmpswap_b64 v[10:11], v45, v[14:17], s[2:3] offset:32 th:TH_ATOMIC_RETURN scope:SCOPE_SYS
	s_wait_loadcnt 0x0
	v_cmpx_ne_u64_e64 v[10:11], v[16:17]
	s_cbranch_execz .LBB1_132
; %bb.130:                              ;   in Loop: Header=BB1_71 Depth=4
	s_mov_b32 s15, 0
.LBB1_131:                              ;   Parent Loop BB1_13 Depth=1
                                        ;     Parent Loop BB1_27 Depth=2
                                        ;       Parent Loop BB1_41 Depth=3
                                        ;         Parent Loop BB1_71 Depth=4
                                        ; =>        This Inner Loop Header: Depth=5
	v_dual_mov_b32 v8, s12 :: v_dual_mov_b32 v9, s13
	s_sleep 1
	global_store_b64 v[12:13], v[10:11], off
	global_wb scope:SCOPE_SYS
	s_wait_storecnt 0x0
	s_wait_xcnt 0x0
	global_atomic_cmpswap_b64 v[8:9], v45, v[8:11], s[2:3] offset:32 th:TH_ATOMIC_RETURN scope:SCOPE_SYS
	s_wait_loadcnt 0x0
	v_cmp_eq_u64_e32 vcc_lo, v[8:9], v[10:11]
	v_mov_b64_e32 v[10:11], v[8:9]
	s_or_b32 s15, vcc_lo, s15
	s_delay_alu instid0(SALU_CYCLE_1)
	s_and_not1_b32 exec_lo, exec_lo, s15
	s_cbranch_execnz .LBB1_131
.LBB1_132:                              ;   in Loop: Header=BB1_71 Depth=4
	s_or_b32 exec_lo, exec_lo, s14
	global_load_b64 v[8:9], v45, s[2:3] offset:16
	s_mov_b32 s15, exec_lo
	s_mov_b32 s14, exec_lo
	v_mbcnt_lo_u32_b32 v3, s15, 0
	s_wait_xcnt 0x0
	s_delay_alu instid0(VALU_DEP_1)
	v_cmpx_eq_u32_e32 0, v3
	s_cbranch_execz .LBB1_134
; %bb.133:                              ;   in Loop: Header=BB1_71 Depth=4
	s_bcnt1_i32_b32 s15, s15
	s_delay_alu instid0(SALU_CYCLE_1)
	v_mov_b32_e32 v44, s15
	global_wb scope:SCOPE_SYS
	s_wait_loadcnt 0x0
	s_wait_storecnt 0x0
	global_atomic_add_u64 v[8:9], v[44:45], off offset:8 scope:SCOPE_SYS
.LBB1_134:                              ;   in Loop: Header=BB1_71 Depth=4
	s_wait_xcnt 0x0
	s_or_b32 exec_lo, exec_lo, s14
	s_wait_loadcnt 0x0
	global_load_b64 v[10:11], v[8:9], off offset:16
	s_wait_loadcnt 0x0
	v_cmp_eq_u64_e32 vcc_lo, 0, v[10:11]
	s_cbranch_vccnz .LBB1_136
; %bb.135:                              ;   in Loop: Header=BB1_71 Depth=4
	global_load_b32 v44, v[8:9], off offset:24
	s_wait_loadcnt 0x0
	v_readfirstlane_b32 s14, v44
	global_wb scope:SCOPE_SYS
	s_wait_storecnt 0x0
	s_wait_xcnt 0x0
	global_store_b64 v[10:11], v[44:45], off scope:SCOPE_SYS
	s_and_b32 m0, s14, 0xffffff
	s_sendmsg sendmsg(MSG_INTERRUPT)
.LBB1_136:                              ;   in Loop: Header=BB1_71 Depth=4
	s_wait_xcnt 0x0
	s_or_b32 exec_lo, exec_lo, s1
	v_mov_b32_e32 v29, v45
	s_delay_alu instid0(VALU_DEP_1)
	v_add_nc_u64_e32 v[8:9], v[26:27], v[28:29]
	s_branch .LBB1_140
.LBB1_137:                              ;   in Loop: Header=BB1_140 Depth=5
	s_wait_xcnt 0x0
	s_or_b32 exec_lo, exec_lo, s1
	s_delay_alu instid0(VALU_DEP_1)
	v_readfirstlane_b32 s1, v3
	s_cmp_eq_u32 s1, 0
	s_cbranch_scc1 .LBB1_139
; %bb.138:                              ;   in Loop: Header=BB1_140 Depth=5
	s_sleep 1
	s_cbranch_execnz .LBB1_140
	s_branch .LBB1_142
.LBB1_139:                              ;   in Loop: Header=BB1_71 Depth=4
	s_branch .LBB1_142
.LBB1_140:                              ;   Parent Loop BB1_13 Depth=1
                                        ;     Parent Loop BB1_27 Depth=2
                                        ;       Parent Loop BB1_41 Depth=3
                                        ;         Parent Loop BB1_71 Depth=4
                                        ; =>        This Inner Loop Header: Depth=5
	v_mov_b32_e32 v3, 1
	s_and_saveexec_b32 s1, s0
	s_cbranch_execz .LBB1_137
; %bb.141:                              ;   in Loop: Header=BB1_140 Depth=5
	global_load_b32 v3, v[30:31], off offset:20 scope:SCOPE_SYS
	s_wait_loadcnt 0x0
	global_inv scope:SCOPE_SYS
	v_and_b32_e32 v3, 1, v3
	s_branch .LBB1_137
.LBB1_142:                              ;   in Loop: Header=BB1_71 Depth=4
	global_load_b128 v[8:11], v[8:9], off
	s_wait_xcnt 0x0
	s_and_saveexec_b32 s14, s0
	s_cbranch_execz .LBB1_70
; %bb.143:                              ;   in Loop: Header=BB1_71 Depth=4
	s_wait_loadcnt 0x0
	s_clause 0x2
	global_load_b64 v[10:11], v45, s[2:3] offset:40
	global_load_b64 v[18:19], v45, s[2:3] offset:24 scope:SCOPE_SYS
	global_load_b64 v[12:13], v45, s[2:3]
	s_wait_loadcnt 0x2
	v_readfirstlane_b32 s18, v10
	v_readfirstlane_b32 s19, v11
	s_add_nc_u64 s[0:1], s[18:19], 1
	s_delay_alu instid0(SALU_CYCLE_1) | instskip(NEXT) | instid1(SALU_CYCLE_1)
	s_add_nc_u64 s[12:13], s[0:1], s[12:13]
	s_cmp_eq_u64 s[12:13], 0
	s_cselect_b32 s1, s1, s13
	s_cselect_b32 s0, s0, s12
	s_delay_alu instid0(SALU_CYCLE_1) | instskip(SKIP_1) | instid1(SALU_CYCLE_1)
	v_dual_mov_b32 v17, s1 :: v_dual_mov_b32 v16, s0
	s_and_b64 s[12:13], s[0:1], s[18:19]
	s_mul_u64 s[12:13], s[12:13], 24
	s_wait_loadcnt 0x0
	v_add_nc_u64_e32 v[14:15], s[12:13], v[12:13]
	global_store_b64 v[14:15], v[18:19], off
	global_wb scope:SCOPE_SYS
	s_wait_storecnt 0x0
	s_wait_xcnt 0x0
	global_atomic_cmpswap_b64 v[12:13], v45, v[16:19], s[2:3] offset:24 th:TH_ATOMIC_RETURN scope:SCOPE_SYS
	s_wait_loadcnt 0x0
	v_cmp_ne_u64_e32 vcc_lo, v[12:13], v[18:19]
	s_and_b32 exec_lo, exec_lo, vcc_lo
	s_cbranch_execz .LBB1_70
; %bb.144:                              ;   in Loop: Header=BB1_71 Depth=4
	s_mov_b32 s12, 0
.LBB1_145:                              ;   Parent Loop BB1_13 Depth=1
                                        ;     Parent Loop BB1_27 Depth=2
                                        ;       Parent Loop BB1_41 Depth=3
                                        ;         Parent Loop BB1_71 Depth=4
                                        ; =>        This Inner Loop Header: Depth=5
	v_dual_mov_b32 v10, s0 :: v_dual_mov_b32 v11, s1
	s_sleep 1
	global_store_b64 v[14:15], v[12:13], off
	global_wb scope:SCOPE_SYS
	s_wait_storecnt 0x0
	s_wait_xcnt 0x0
	global_atomic_cmpswap_b64 v[10:11], v45, v[10:13], s[2:3] offset:24 th:TH_ATOMIC_RETURN scope:SCOPE_SYS
	s_wait_loadcnt 0x0
	v_cmp_eq_u64_e32 vcc_lo, v[10:11], v[12:13]
	v_mov_b64_e32 v[12:13], v[10:11]
	s_or_b32 s12, vcc_lo, s12
	s_delay_alu instid0(SALU_CYCLE_1)
	s_and_not1_b32 exec_lo, exec_lo, s12
	s_cbranch_execnz .LBB1_145
	s_branch .LBB1_70
.LBB1_146:                              ;   in Loop: Header=BB1_41 Depth=3
	s_branch .LBB1_174
.LBB1_147:                              ;   in Loop: Header=BB1_41 Depth=3
	s_cbranch_execz .LBB1_174
; %bb.148:                              ;   in Loop: Header=BB1_41 Depth=3
	v_readfirstlane_b32 s0, v100
	s_wait_loadcnt 0x0
	v_mov_b64_e32 v[8:9], 0
	s_delay_alu instid0(VALU_DEP_2)
	v_cmp_eq_u32_e64 s0, s0, v100
	s_and_saveexec_b32 s1, s0
	s_cbranch_execz .LBB1_154
; %bb.149:                              ;   in Loop: Header=BB1_41 Depth=3
	global_load_b64 v[10:11], v45, s[2:3] offset:24 scope:SCOPE_SYS
	s_wait_loadcnt 0x0
	global_inv scope:SCOPE_SYS
	s_clause 0x1
	global_load_b64 v[8:9], v45, s[2:3] offset:40
	global_load_b64 v[12:13], v45, s[2:3]
	s_mov_b32 s4, exec_lo
	s_wait_loadcnt 0x1
	v_and_b32_e32 v8, v8, v10
	v_and_b32_e32 v9, v9, v11
	s_delay_alu instid0(VALU_DEP_1) | instskip(SKIP_1) | instid1(VALU_DEP_1)
	v_mul_u64_e32 v[8:9], 24, v[8:9]
	s_wait_loadcnt 0x0
	v_add_nc_u64_e32 v[8:9], v[12:13], v[8:9]
	global_load_b64 v[8:9], v[8:9], off scope:SCOPE_SYS
	s_wait_xcnt 0x0
	s_wait_loadcnt 0x0
	global_atomic_cmpswap_b64 v[8:9], v45, v[8:11], s[2:3] offset:24 th:TH_ATOMIC_RETURN scope:SCOPE_SYS
	s_wait_loadcnt 0x0
	global_inv scope:SCOPE_SYS
	s_wait_xcnt 0x0
	v_cmpx_ne_u64_e64 v[8:9], v[10:11]
	s_cbranch_execz .LBB1_153
; %bb.150:                              ;   in Loop: Header=BB1_41 Depth=3
	s_mov_b32 s5, 0
.LBB1_151:                              ;   Parent Loop BB1_13 Depth=1
                                        ;     Parent Loop BB1_27 Depth=2
                                        ;       Parent Loop BB1_41 Depth=3
                                        ; =>      This Inner Loop Header: Depth=4
	s_sleep 1
	s_clause 0x1
	global_load_b64 v[12:13], v45, s[2:3] offset:40
	global_load_b64 v[14:15], v45, s[2:3]
	v_mov_b64_e32 v[10:11], v[8:9]
	s_wait_loadcnt 0x1
	s_delay_alu instid0(VALU_DEP_1) | instskip(SKIP_1) | instid1(VALU_DEP_1)
	v_and_b32_e32 v3, v12, v10
	s_wait_loadcnt 0x0
	v_mad_nc_u64_u32 v[8:9], v3, 24, v[14:15]
	s_delay_alu instid0(VALU_DEP_3) | instskip(NEXT) | instid1(VALU_DEP_1)
	v_and_b32_e32 v3, v13, v11
	v_mad_u32 v9, v3, 24, v9
	global_load_b64 v[8:9], v[8:9], off scope:SCOPE_SYS
	s_wait_xcnt 0x0
	s_wait_loadcnt 0x0
	global_atomic_cmpswap_b64 v[8:9], v45, v[8:11], s[2:3] offset:24 th:TH_ATOMIC_RETURN scope:SCOPE_SYS
	s_wait_loadcnt 0x0
	global_inv scope:SCOPE_SYS
	v_cmp_eq_u64_e32 vcc_lo, v[8:9], v[10:11]
	s_or_b32 s5, vcc_lo, s5
	s_wait_xcnt 0x0
	s_and_not1_b32 exec_lo, exec_lo, s5
	s_cbranch_execnz .LBB1_151
; %bb.152:                              ;   in Loop: Header=BB1_41 Depth=3
	s_or_b32 exec_lo, exec_lo, s5
.LBB1_153:                              ;   in Loop: Header=BB1_41 Depth=3
	s_delay_alu instid0(SALU_CYCLE_1)
	s_or_b32 exec_lo, exec_lo, s4
.LBB1_154:                              ;   in Loop: Header=BB1_41 Depth=3
	s_delay_alu instid0(SALU_CYCLE_1)
	s_or_b32 exec_lo, exec_lo, s1
	s_clause 0x1
	global_load_b64 v[14:15], v45, s[2:3] offset:40
	global_load_b128 v[10:13], v45, s[2:3]
	v_readfirstlane_b32 s4, v8
	v_readfirstlane_b32 s5, v9
	s_mov_b32 s1, exec_lo
	s_wait_loadcnt 0x1
	v_and_b32_e32 v8, s4, v14
	v_and_b32_e32 v9, s5, v15
	s_delay_alu instid0(VALU_DEP_1) | instskip(SKIP_1) | instid1(VALU_DEP_1)
	v_mul_u64_e32 v[14:15], 24, v[8:9]
	s_wait_loadcnt 0x0
	v_add_nc_u64_e32 v[14:15], v[10:11], v[14:15]
	s_wait_xcnt 0x0
	s_and_saveexec_b32 s6, s0
	s_cbranch_execz .LBB1_156
; %bb.155:                              ;   in Loop: Header=BB1_41 Depth=3
	v_mov_b32_e32 v44, s1
	global_store_b128 v[14:15], v[44:47], off offset:8
.LBB1_156:                              ;   in Loop: Header=BB1_41 Depth=3
	s_wait_xcnt 0x0
	s_or_b32 exec_lo, exec_lo, s6
	v_lshlrev_b64_e32 v[8:9], 12, v[8:9]
	s_mov_b32 s41, s40
	s_mov_b32 s42, s40
	;; [unrolled: 1-line block ×3, first 2 shown]
	v_mov_b64_e32 v[16:17], s[40:41]
	v_mov_b64_e32 v[18:19], s[42:43]
	v_and_or_b32 v6, 0xffffff1d, v6, 34
	v_add_nc_u64_e32 v[12:13], v[12:13], v[8:9]
	v_dual_mov_b32 v8, v45 :: v_dual_mov_b32 v9, v45
	s_delay_alu instid0(VALU_DEP_2) | instskip(NEXT) | instid1(VALU_DEP_3)
	v_readfirstlane_b32 s6, v12
	v_readfirstlane_b32 s7, v13
	s_clause 0x3
	global_store_b128 v28, v[6:9], s[6:7]
	global_store_b128 v28, v[16:19], s[6:7] offset:16
	global_store_b128 v28, v[16:19], s[6:7] offset:32
	;; [unrolled: 1-line block ×3, first 2 shown]
	s_wait_xcnt 0x0
	s_and_saveexec_b32 s1, s0
	s_cbranch_execz .LBB1_164
; %bb.157:                              ;   in Loop: Header=BB1_41 Depth=3
	s_clause 0x1
	global_load_b64 v[18:19], v45, s[2:3] offset:32 scope:SCOPE_SYS
	global_load_b64 v[6:7], v45, s[2:3] offset:40
	s_mov_b32 s6, exec_lo
	v_dual_mov_b32 v16, s4 :: v_dual_mov_b32 v17, s5
	s_wait_loadcnt 0x0
	v_and_b32_e32 v7, s5, v7
	v_and_b32_e32 v6, s4, v6
	s_delay_alu instid0(VALU_DEP_1) | instskip(NEXT) | instid1(VALU_DEP_1)
	v_mul_u64_e32 v[6:7], 24, v[6:7]
	v_add_nc_u64_e32 v[10:11], v[10:11], v[6:7]
	global_store_b64 v[10:11], v[18:19], off
	global_wb scope:SCOPE_SYS
	s_wait_storecnt 0x0
	s_wait_xcnt 0x0
	global_atomic_cmpswap_b64 v[8:9], v45, v[16:19], s[2:3] offset:32 th:TH_ATOMIC_RETURN scope:SCOPE_SYS
	s_wait_loadcnt 0x0
	v_cmpx_ne_u64_e64 v[8:9], v[18:19]
	s_cbranch_execz .LBB1_160
; %bb.158:                              ;   in Loop: Header=BB1_41 Depth=3
	s_mov_b32 s7, 0
.LBB1_159:                              ;   Parent Loop BB1_13 Depth=1
                                        ;     Parent Loop BB1_27 Depth=2
                                        ;       Parent Loop BB1_41 Depth=3
                                        ; =>      This Inner Loop Header: Depth=4
	v_dual_mov_b32 v6, s4 :: v_dual_mov_b32 v7, s5
	s_sleep 1
	global_store_b64 v[10:11], v[8:9], off
	global_wb scope:SCOPE_SYS
	s_wait_storecnt 0x0
	s_wait_xcnt 0x0
	global_atomic_cmpswap_b64 v[6:7], v45, v[6:9], s[2:3] offset:32 th:TH_ATOMIC_RETURN scope:SCOPE_SYS
	s_wait_loadcnt 0x0
	v_cmp_eq_u64_e32 vcc_lo, v[6:7], v[8:9]
	v_mov_b64_e32 v[8:9], v[6:7]
	s_or_b32 s7, vcc_lo, s7
	s_delay_alu instid0(SALU_CYCLE_1)
	s_and_not1_b32 exec_lo, exec_lo, s7
	s_cbranch_execnz .LBB1_159
.LBB1_160:                              ;   in Loop: Header=BB1_41 Depth=3
	s_or_b32 exec_lo, exec_lo, s6
	global_load_b64 v[6:7], v45, s[2:3] offset:16
	s_mov_b32 s7, exec_lo
	s_mov_b32 s6, exec_lo
	v_mbcnt_lo_u32_b32 v3, s7, 0
	s_wait_xcnt 0x0
	s_delay_alu instid0(VALU_DEP_1)
	v_cmpx_eq_u32_e32 0, v3
	s_cbranch_execz .LBB1_162
; %bb.161:                              ;   in Loop: Header=BB1_41 Depth=3
	s_bcnt1_i32_b32 s7, s7
	s_delay_alu instid0(SALU_CYCLE_1)
	v_mov_b32_e32 v44, s7
	global_wb scope:SCOPE_SYS
	s_wait_loadcnt 0x0
	s_wait_storecnt 0x0
	global_atomic_add_u64 v[6:7], v[44:45], off offset:8 scope:SCOPE_SYS
.LBB1_162:                              ;   in Loop: Header=BB1_41 Depth=3
	s_wait_xcnt 0x0
	s_or_b32 exec_lo, exec_lo, s6
	s_wait_loadcnt 0x0
	global_load_b64 v[8:9], v[6:7], off offset:16
	s_wait_loadcnt 0x0
	v_cmp_eq_u64_e32 vcc_lo, 0, v[8:9]
	s_cbranch_vccnz .LBB1_164
; %bb.163:                              ;   in Loop: Header=BB1_41 Depth=3
	global_load_b32 v44, v[6:7], off offset:24
	s_wait_loadcnt 0x0
	v_readfirstlane_b32 s6, v44
	global_wb scope:SCOPE_SYS
	s_wait_storecnt 0x0
	s_wait_xcnt 0x0
	global_store_b64 v[8:9], v[44:45], off scope:SCOPE_SYS
	s_and_b32 m0, s6, 0xffffff
	s_sendmsg sendmsg(MSG_INTERRUPT)
.LBB1_164:                              ;   in Loop: Header=BB1_41 Depth=3
	s_wait_xcnt 0x0
	s_or_b32 exec_lo, exec_lo, s1
	s_branch .LBB1_168
.LBB1_165:                              ;   in Loop: Header=BB1_168 Depth=4
	s_wait_xcnt 0x0
	s_or_b32 exec_lo, exec_lo, s1
	s_delay_alu instid0(VALU_DEP_1)
	v_readfirstlane_b32 s1, v3
	s_cmp_eq_u32 s1, 0
	s_cbranch_scc1 .LBB1_167
; %bb.166:                              ;   in Loop: Header=BB1_168 Depth=4
	s_sleep 1
	s_cbranch_execnz .LBB1_168
	s_branch .LBB1_170
.LBB1_167:                              ;   in Loop: Header=BB1_41 Depth=3
	s_branch .LBB1_170
.LBB1_168:                              ;   Parent Loop BB1_13 Depth=1
                                        ;     Parent Loop BB1_27 Depth=2
                                        ;       Parent Loop BB1_41 Depth=3
                                        ; =>      This Inner Loop Header: Depth=4
	v_mov_b32_e32 v3, 1
	s_and_saveexec_b32 s1, s0
	s_cbranch_execz .LBB1_165
; %bb.169:                              ;   in Loop: Header=BB1_168 Depth=4
	global_load_b32 v3, v[14:15], off offset:20 scope:SCOPE_SYS
	s_wait_loadcnt 0x0
	global_inv scope:SCOPE_SYS
	v_and_b32_e32 v3, 1, v3
	s_branch .LBB1_165
.LBB1_170:                              ;   in Loop: Header=BB1_41 Depth=3
	s_and_b32 exec_lo, exec_lo, s0
	s_cbranch_execz .LBB1_174
; %bb.171:                              ;   in Loop: Header=BB1_41 Depth=3
	s_clause 0x2
	global_load_b64 v[6:7], v45, s[2:3] offset:40
	global_load_b64 v[14:15], v45, s[2:3] offset:24 scope:SCOPE_SYS
	global_load_b64 v[8:9], v45, s[2:3]
	s_wait_loadcnt 0x2
	v_readfirstlane_b32 s6, v6
	v_readfirstlane_b32 s7, v7
	s_add_nc_u64 s[0:1], s[6:7], 1
	s_delay_alu instid0(SALU_CYCLE_1) | instskip(NEXT) | instid1(SALU_CYCLE_1)
	s_add_nc_u64 s[4:5], s[0:1], s[4:5]
	s_cmp_eq_u64 s[4:5], 0
	s_cselect_b32 s1, s1, s5
	s_cselect_b32 s0, s0, s4
	s_delay_alu instid0(SALU_CYCLE_1) | instskip(SKIP_1) | instid1(SALU_CYCLE_1)
	v_dual_mov_b32 v13, s1 :: v_dual_mov_b32 v12, s0
	s_and_b64 s[4:5], s[0:1], s[6:7]
	s_mul_u64 s[4:5], s[4:5], 24
	s_wait_loadcnt 0x0
	v_add_nc_u64_e32 v[10:11], s[4:5], v[8:9]
	global_store_b64 v[10:11], v[14:15], off
	global_wb scope:SCOPE_SYS
	s_wait_storecnt 0x0
	s_wait_xcnt 0x0
	global_atomic_cmpswap_b64 v[8:9], v45, v[12:15], s[2:3] offset:24 th:TH_ATOMIC_RETURN scope:SCOPE_SYS
	s_wait_loadcnt 0x0
	v_cmp_ne_u64_e32 vcc_lo, v[8:9], v[14:15]
	s_and_b32 exec_lo, exec_lo, vcc_lo
	s_cbranch_execz .LBB1_174
; %bb.172:                              ;   in Loop: Header=BB1_41 Depth=3
	s_mov_b32 s4, 0
.LBB1_173:                              ;   Parent Loop BB1_13 Depth=1
                                        ;     Parent Loop BB1_27 Depth=2
                                        ;       Parent Loop BB1_41 Depth=3
                                        ; =>      This Inner Loop Header: Depth=4
	v_dual_mov_b32 v6, s0 :: v_dual_mov_b32 v7, s1
	s_sleep 1
	global_store_b64 v[10:11], v[8:9], off
	global_wb scope:SCOPE_SYS
	s_wait_storecnt 0x0
	s_wait_xcnt 0x0
	global_atomic_cmpswap_b64 v[6:7], v45, v[6:9], s[2:3] offset:24 th:TH_ATOMIC_RETURN scope:SCOPE_SYS
	s_wait_loadcnt 0x0
	v_cmp_eq_u64_e32 vcc_lo, v[6:7], v[8:9]
	v_mov_b64_e32 v[8:9], v[6:7]
	s_or_b32 s4, vcc_lo, s4
	s_delay_alu instid0(SALU_CYCLE_1)
	s_and_not1_b32 exec_lo, exec_lo, s4
	s_cbranch_execnz .LBB1_173
.LBB1_174:                              ;   in Loop: Header=BB1_41 Depth=3
	s_or_b32 exec_lo, exec_lo, s16
	v_mov_b32_e32 v3, v45
	s_mov_b32 s0, exec_lo
	s_wait_loadcnt 0x0
	s_delay_alu instid0(VALU_DEP_1)
	v_add_nc_u64_e32 v[6:7], v[90:91], v[2:3]
	global_load_u8 v5, v[6:7], off
	s_wait_loadcnt 0x0
	v_cmpx_ne_u16_e32 0x4e, v5
	s_cbranch_execz .LBB1_40
; %bb.175:                              ;   in Loop: Header=BB1_41 Depth=3
	v_add_nc_u64_e32 v[2:3], v[92:93], v[2:3]
	s_mov_b32 s1, exec_lo
	global_load_i8 v2, v[2:3], off
	s_wait_loadcnt 0x0
	v_subrev_nc_u32_e32 v6, s58, v2
	s_wait_xcnt 0x0
	s_delay_alu instid0(VALU_DEP_1)
	v_cmpx_lt_i32_e32 9, v6
	s_cbranch_execz .LBB1_180
; %bb.176:                              ;   in Loop: Header=BB1_41 Depth=3
	s_mov_b32 s2, 0
	s_mov_b32 s3, exec_lo
                                        ; implicit-def: $vgpr2_vgpr3
	v_cmpx_lt_i16_e32 0x46, v5
	s_xor_b32 s3, exec_lo, s3
	s_cbranch_execnz .LBB1_184
; %bb.177:                              ;   in Loop: Header=BB1_41 Depth=3
	s_and_not1_saveexec_b32 s3, s3
	s_cbranch_execnz .LBB1_193
.LBB1_178:                              ;   in Loop: Header=BB1_41 Depth=3
	s_or_b32 exec_lo, exec_lo, s3
	s_delay_alu instid0(SALU_CYCLE_1)
	s_and_b32 exec_lo, exec_lo, s2
	s_cbranch_execz .LBB1_180
.LBB1_179:                              ;   in Loop: Header=BB1_41 Depth=3
	flat_atomic_add_u32 v[2:3], v98 scope:SCOPE_DEV
.LBB1_180:                              ;   in Loop: Header=BB1_41 Depth=3
	s_wait_xcnt 0x0
	s_or_b32 exec_lo, exec_lo, s1
	v_cmp_lt_i32_e32 vcc_lo, 19, v6
	s_and_b32 exec_lo, exec_lo, vcc_lo
	s_cbranch_execz .LBB1_40
; %bb.181:                              ;   in Loop: Header=BB1_41 Depth=3
	s_mov_b32 s1, 0
	s_mov_b32 s2, exec_lo
                                        ; implicit-def: $vgpr2_vgpr3
	v_cmpx_lt_i16_e32 0x46, v5
	s_xor_b32 s2, exec_lo, s2
	s_cbranch_execnz .LBB1_200
; %bb.182:                              ;   in Loop: Header=BB1_41 Depth=3
	s_and_not1_saveexec_b32 s2, s2
	s_cbranch_execnz .LBB1_209
.LBB1_183:                              ;   in Loop: Header=BB1_41 Depth=3
	s_or_b32 exec_lo, exec_lo, s2
	s_delay_alu instid0(SALU_CYCLE_1)
	s_and_b32 exec_lo, exec_lo, s1
	s_cbranch_execz .LBB1_40
	s_branch .LBB1_216
.LBB1_184:                              ;   in Loop: Header=BB1_41 Depth=3
	s_mov_b32 s4, exec_lo
                                        ; implicit-def: $vgpr2_vgpr3
	v_cmpx_lt_i16_e32 0x53, v5
	s_xor_b32 s4, exec_lo, s4
	s_cbranch_execz .LBB1_188
; %bb.185:                              ;   in Loop: Header=BB1_41 Depth=3
	s_mov_b32 s5, exec_lo
                                        ; implicit-def: $vgpr2_vgpr3
	v_cmpx_eq_u16_e32 0x54, v5
; %bb.186:                              ;   in Loop: Header=BB1_41 Depth=3
	s_mov_b32 s2, exec_lo
	v_add_nc_u64_e32 v[2:3], 44, v[0:1]
; %bb.187:                              ;   in Loop: Header=BB1_41 Depth=3
	s_or_b32 exec_lo, exec_lo, s5
	s_delay_alu instid0(SALU_CYCLE_1)
	s_and_b32 s2, s2, exec_lo
.LBB1_188:                              ;   in Loop: Header=BB1_41 Depth=3
	s_and_not1_saveexec_b32 s4, s4
	s_cbranch_execz .LBB1_192
; %bb.189:                              ;   in Loop: Header=BB1_41 Depth=3
	s_mov_b32 s5, s2
	s_mov_b32 s6, exec_lo
                                        ; implicit-def: $vgpr2_vgpr3
	v_cmpx_eq_u16_e32 0x47, v5
; %bb.190:                              ;   in Loop: Header=BB1_41 Depth=3
	v_add_nc_u64_e32 v[2:3], 40, v[0:1]
	s_or_b32 s5, s2, exec_lo
; %bb.191:                              ;   in Loop: Header=BB1_41 Depth=3
	s_or_b32 exec_lo, exec_lo, s6
	s_delay_alu instid0(SALU_CYCLE_1) | instskip(SKIP_1) | instid1(SALU_CYCLE_1)
	s_and_not1_b32 s2, s2, exec_lo
	s_and_b32 s5, s5, exec_lo
	s_or_b32 s2, s2, s5
.LBB1_192:                              ;   in Loop: Header=BB1_41 Depth=3
	s_or_b32 exec_lo, exec_lo, s4
	s_delay_alu instid0(SALU_CYCLE_1)
	s_and_b32 s2, s2, exec_lo
	s_and_not1_saveexec_b32 s3, s3
	s_cbranch_execz .LBB1_178
.LBB1_193:                              ;   in Loop: Header=BB1_41 Depth=3
	s_mov_b32 s4, s2
	s_mov_b32 s5, exec_lo
                                        ; implicit-def: $vgpr2_vgpr3
	v_cmpx_lt_i16_e32 0x42, v5
	s_xor_b32 s5, exec_lo, s5
	s_cbranch_execz .LBB1_197
; %bb.194:                              ;   in Loop: Header=BB1_41 Depth=3
	s_mov_b32 s4, s2
	s_mov_b32 s6, exec_lo
                                        ; implicit-def: $vgpr2_vgpr3
	v_cmpx_eq_u16_e32 0x43, v5
; %bb.195:                              ;   in Loop: Header=BB1_41 Depth=3
	v_add_nc_u64_e32 v[2:3], 36, v[0:1]
	s_or_b32 s4, s2, exec_lo
; %bb.196:                              ;   in Loop: Header=BB1_41 Depth=3
	s_or_b32 exec_lo, exec_lo, s6
	s_delay_alu instid0(SALU_CYCLE_1) | instskip(SKIP_1) | instid1(SALU_CYCLE_1)
	s_and_not1_b32 s6, s2, exec_lo
	s_and_b32 s4, s4, exec_lo
	s_or_b32 s4, s6, s4
.LBB1_197:                              ;   in Loop: Header=BB1_41 Depth=3
	s_and_not1_saveexec_b32 s5, s5
; %bb.198:                              ;   in Loop: Header=BB1_41 Depth=3
	v_cmp_eq_u16_e32 vcc_lo, 0x41, v5
	v_add_nc_u64_e32 v[2:3], 32, v[0:1]
	s_and_not1_b32 s4, s4, exec_lo
	s_and_b32 s6, vcc_lo, exec_lo
	s_delay_alu instid0(SALU_CYCLE_1)
	s_or_b32 s4, s4, s6
; %bb.199:                              ;   in Loop: Header=BB1_41 Depth=3
	s_or_b32 exec_lo, exec_lo, s5
	s_delay_alu instid0(SALU_CYCLE_1) | instskip(SKIP_1) | instid1(SALU_CYCLE_1)
	s_and_not1_b32 s2, s2, exec_lo
	s_and_b32 s4, s4, exec_lo
	s_or_b32 s2, s2, s4
	s_or_b32 exec_lo, exec_lo, s3
	s_delay_alu instid0(SALU_CYCLE_1)
	s_and_b32 exec_lo, exec_lo, s2
	s_cbranch_execnz .LBB1_179
	s_branch .LBB1_180
.LBB1_200:                              ;   in Loop: Header=BB1_41 Depth=3
	s_mov_b32 s3, exec_lo
                                        ; implicit-def: $vgpr2_vgpr3
	v_cmpx_lt_i16_e32 0x53, v5
	s_xor_b32 s3, exec_lo, s3
	s_cbranch_execz .LBB1_204
; %bb.201:                              ;   in Loop: Header=BB1_41 Depth=3
	s_mov_b32 s4, exec_lo
                                        ; implicit-def: $vgpr2_vgpr3
	v_cmpx_eq_u16_e32 0x54, v5
; %bb.202:                              ;   in Loop: Header=BB1_41 Depth=3
	s_mov_b32 s1, exec_lo
	v_add_nc_u64_e32 v[2:3], 28, v[0:1]
; %bb.203:                              ;   in Loop: Header=BB1_41 Depth=3
	s_or_b32 exec_lo, exec_lo, s4
	s_delay_alu instid0(SALU_CYCLE_1)
	s_and_b32 s1, s1, exec_lo
                                        ; implicit-def: $vgpr5
                                        ; implicit-def: $vgpr0_vgpr1
.LBB1_204:                              ;   in Loop: Header=BB1_41 Depth=3
	s_and_not1_saveexec_b32 s3, s3
	s_cbranch_execz .LBB1_208
; %bb.205:                              ;   in Loop: Header=BB1_41 Depth=3
	s_mov_b32 s4, s1
	s_mov_b32 s5, exec_lo
                                        ; implicit-def: $vgpr2_vgpr3
	v_cmpx_eq_u16_e32 0x47, v5
; %bb.206:                              ;   in Loop: Header=BB1_41 Depth=3
	v_add_nc_u64_e32 v[2:3], 24, v[0:1]
	s_or_b32 s4, s1, exec_lo
; %bb.207:                              ;   in Loop: Header=BB1_41 Depth=3
	s_or_b32 exec_lo, exec_lo, s5
	s_delay_alu instid0(SALU_CYCLE_1) | instskip(SKIP_1) | instid1(SALU_CYCLE_1)
	s_and_not1_b32 s1, s1, exec_lo
	s_and_b32 s4, s4, exec_lo
	s_or_b32 s1, s1, s4
.LBB1_208:                              ;   in Loop: Header=BB1_41 Depth=3
	s_or_b32 exec_lo, exec_lo, s3
	s_delay_alu instid0(SALU_CYCLE_1)
	s_and_b32 s1, s1, exec_lo
                                        ; implicit-def: $vgpr0_vgpr1
                                        ; implicit-def: $vgpr5
	s_and_not1_saveexec_b32 s2, s2
	s_cbranch_execz .LBB1_183
.LBB1_209:                              ;   in Loop: Header=BB1_41 Depth=3
	s_mov_b32 s3, s1
	s_mov_b32 s4, exec_lo
                                        ; implicit-def: $vgpr2_vgpr3
	v_cmpx_lt_i16_e32 0x42, v5
	s_xor_b32 s4, exec_lo, s4
	s_cbranch_execz .LBB1_213
; %bb.210:                              ;   in Loop: Header=BB1_41 Depth=3
	s_mov_b32 s3, s1
	s_mov_b32 s5, exec_lo
                                        ; implicit-def: $vgpr2_vgpr3
	v_cmpx_eq_u16_e32 0x43, v5
; %bb.211:                              ;   in Loop: Header=BB1_41 Depth=3
	v_add_nc_u64_e32 v[2:3], 20, v[0:1]
	s_or_b32 s3, s1, exec_lo
; %bb.212:                              ;   in Loop: Header=BB1_41 Depth=3
	s_or_b32 exec_lo, exec_lo, s5
	s_delay_alu instid0(SALU_CYCLE_1) | instskip(SKIP_1) | instid1(SALU_CYCLE_1)
	s_and_not1_b32 s5, s1, exec_lo
	s_and_b32 s3, s3, exec_lo
                                        ; implicit-def: $vgpr0_vgpr1
                                        ; implicit-def: $vgpr5
	s_or_b32 s3, s5, s3
.LBB1_213:                              ;   in Loop: Header=BB1_41 Depth=3
	s_and_not1_saveexec_b32 s4, s4
; %bb.214:                              ;   in Loop: Header=BB1_41 Depth=3
	v_cmp_eq_u16_e32 vcc_lo, 0x41, v5
	v_add_nc_u64_e32 v[2:3], 16, v[0:1]
	s_and_not1_b32 s3, s3, exec_lo
	s_and_b32 s5, vcc_lo, exec_lo
	s_delay_alu instid0(SALU_CYCLE_1)
	s_or_b32 s3, s3, s5
; %bb.215:                              ;   in Loop: Header=BB1_41 Depth=3
	s_or_b32 exec_lo, exec_lo, s4
	s_delay_alu instid0(SALU_CYCLE_1) | instskip(SKIP_1) | instid1(SALU_CYCLE_1)
	s_and_not1_b32 s1, s1, exec_lo
	s_and_b32 s3, s3, exec_lo
	s_or_b32 s1, s1, s3
	s_or_b32 exec_lo, exec_lo, s2
	s_delay_alu instid0(SALU_CYCLE_1)
	s_and_b32 exec_lo, exec_lo, s1
	s_cbranch_execz .LBB1_40
.LBB1_216:                              ;   in Loop: Header=BB1_41 Depth=3
	flat_atomic_add_u32 v[2:3], v98 scope:SCOPE_DEV
	s_branch .LBB1_40
.LBB1_217:                              ;   in Loop: Header=BB1_13 Depth=1
	s_or_b32 exec_lo, exec_lo, s66
; %bb.218:                              ;   in Loop: Header=BB1_13 Depth=1
	s_and_saveexec_b32 s16, s28
	s_cbranch_execz .LBB1_565
; %bb.219:                              ;   in Loop: Header=BB1_13 Depth=1
	v_mov_b32_e32 v5, v72
	s_mov_b32 s17, 0
	s_branch .LBB1_221
.LBB1_220:                              ;   in Loop: Header=BB1_221 Depth=2
	s_wait_xcnt 0x0
	s_or_b32 exec_lo, exec_lo, s18
	v_add_nc_u32_e32 v5, 32, v5
	s_delay_alu instid0(VALU_DEP_1) | instskip(SKIP_1) | instid1(SALU_CYCLE_1)
	v_cmp_ge_u32_e32 vcc_lo, v5, v42
	s_or_b32 s17, vcc_lo, s17
	s_and_not1_b32 exec_lo, exec_lo, s17
	s_cbranch_execz .LBB1_565
.LBB1_221:                              ;   Parent Loop BB1_13 Depth=1
                                        ; =>  This Loop Header: Depth=2
                                        ;       Child Loop BB1_330 Depth 3
                                        ;       Child Loop BB1_338 Depth 3
	;; [unrolled: 1-line block ×9, first 2 shown]
                                        ;         Child Loop BB1_431 Depth 4
                                        ;         Child Loop BB1_438 Depth 4
	;; [unrolled: 1-line block ×11, first 2 shown]
	s_delay_alu instid0(VALU_DEP_1)
	v_mad_nc_u64_u32 v[26:27], v5, 56, v[40:41]
	s_mov_b32 s18, exec_lo
	global_load_b32 v0, v[26:27], off offset:8
	s_wait_loadcnt 0x0
	s_wait_xcnt 0x0
	v_cmpx_ne_u32_e32 -1, v0
	s_cbranch_execz .LBB1_220
; %bb.222:                              ;   in Loop: Header=BB1_221 Depth=2
	s_clause 0x1
	global_load_b128 v[0:3], v[26:27], off offset:32
	global_load_b128 v[6:9], v[26:27], off offset:16
	s_mov_b32 s2, exec_lo
	s_wait_loadcnt 0x1
	v_dual_mov_b32 v17, v3 :: v_dual_mov_b32 v11, v2
	s_wait_loadcnt 0x0
	v_dual_mov_b32 v18, v1 :: v_dual_mov_b32 v12, v6
	v_dual_mov_b32 v16, v0 :: v_dual_mov_b32 v13, v0
	;; [unrolled: 1-line block ×4, first 2 shown]
	v_mov_b32_e32 v21, v3
	s_clause 0x7
	scratch_store_b8 off, v101, off
	scratch_store_b64 off, v[12:13], off offset:4
	scratch_store_b8 off, v102, off offset:16
	scratch_store_b64 off, v[14:15], off offset:20
	scratch_store_b8 off, v103, off offset:32
	;; [unrolled: 2-line block ×3, first 2 shown]
	scratch_store_b64 off, v[20:21], off offset:52
	s_wait_xcnt 0x0
	v_cmpx_lt_u32_e32 1, v0
	s_cbranch_execz .LBB1_236
; %bb.223:                              ;   in Loop: Header=BB1_221 Depth=2
	v_cvt_f64_u32_e32 v[14:15], v0
	v_mov_b32_e32 v16, 2
	s_mov_b32 s3, exec_lo
	s_delay_alu instid0(VALU_DEP_2)
	v_cmpx_ngt_f64_e32 v[76:77], v[14:15]
	s_cbranch_execz .LBB1_235
; %bb.224:                              ;   in Loop: Header=BB1_221 Depth=2
	v_cvt_f64_u32_e32 v[12:13], v6
	v_cmp_ngt_f64_e32 vcc_lo, v[78:79], v[14:15]
	v_cmp_nle_f64_e64 s0, v[76:77], v[14:15]
	v_mov_b32_e32 v16, 3
	s_delay_alu instid0(VALU_DEP_4) | instskip(SKIP_1) | instid1(SALU_CYCLE_1)
	v_cmp_ngt_f64_e64 s1, v[76:77], v[12:13]
	s_or_b32 s0, vcc_lo, s0
	s_or_b32 s4, s0, s1
	s_delay_alu instid0(SALU_CYCLE_1)
	s_and_saveexec_b32 s1, s4
	s_cbranch_execz .LBB1_234
; %bb.225:                              ;   in Loop: Header=BB1_221 Depth=2
	v_cmp_nle_f64_e32 vcc_lo, v[76:77], v[12:13]
	v_mov_b32_e32 v16, 4
	s_or_b32 s0, s0, vcc_lo
	s_delay_alu instid0(SALU_CYCLE_1)
	s_and_saveexec_b32 s4, s0
	s_cbranch_execz .LBB1_233
; %bb.226:                              ;   in Loop: Header=BB1_221 Depth=2
	v_cmp_nle_f64_e64 s6, v[78:79], v[14:15]
	v_cmp_ngt_f64_e64 s0, v[76:77], v[12:13]
	v_mov_b32_e32 v16, 5
	v_cmp_le_f64_e32 vcc_lo, v[78:79], v[14:15]
	s_or_b32 s0, s6, s0
	s_delay_alu instid0(SALU_CYCLE_1)
	s_and_saveexec_b32 s5, s0
	s_cbranch_execz .LBB1_232
; %bb.227:                              ;   in Loop: Header=BB1_221 Depth=2
	s_and_saveexec_b32 s7, vcc_lo
	s_cbranch_execz .LBB1_229
; %bb.228:                              ;   in Loop: Header=BB1_221 Depth=2
	v_cmp_nlt_f64_e32 vcc_lo, v[76:77], v[12:13]
	v_cmp_ngt_f64_e64 s0, v[78:79], v[12:13]
	s_and_not1_b32 s6, s6, exec_lo
	s_or_b32 s0, vcc_lo, s0
	s_delay_alu instid0(SALU_CYCLE_1) | instskip(NEXT) | instid1(SALU_CYCLE_1)
	s_and_b32 s0, s0, exec_lo
	s_or_b32 s6, s6, s0
.LBB1_229:                              ;   in Loop: Header=BB1_221 Depth=2
	s_or_b32 exec_lo, exec_lo, s7
	v_mov_b32_e32 v16, 6
	s_and_saveexec_b32 s0, s6
; %bb.230:                              ;   in Loop: Header=BB1_221 Depth=2
	v_mov_b32_e32 v16, 7
; %bb.231:                              ;   in Loop: Header=BB1_221 Depth=2
	s_or_b32 exec_lo, exec_lo, s0
.LBB1_232:                              ;   in Loop: Header=BB1_221 Depth=2
	s_delay_alu instid0(SALU_CYCLE_1)
	s_or_b32 exec_lo, exec_lo, s5
.LBB1_233:                              ;   in Loop: Header=BB1_221 Depth=2
	s_delay_alu instid0(SALU_CYCLE_1)
	s_or_b32 exec_lo, exec_lo, s4
.LBB1_234:                              ;   in Loop: Header=BB1_221 Depth=2
	s_delay_alu instid0(SALU_CYCLE_1)
	s_or_b32 exec_lo, exec_lo, s1
.LBB1_235:                              ;   in Loop: Header=BB1_221 Depth=2
	s_delay_alu instid0(SALU_CYCLE_1)
	s_or_b32 exec_lo, exec_lo, s3
.LBB1_236:                              ;   in Loop: Header=BB1_221 Depth=2
	s_delay_alu instid0(SALU_CYCLE_1) | instskip(NEXT) | instid1(SALU_CYCLE_1)
	s_or_b32 exec_lo, exec_lo, s2
	s_mov_b32 s2, exec_lo
	scratch_store_b32 off, v16, off offset:12
	s_wait_xcnt 0x0
	v_cmpx_lt_u32_e32 1, v1
	s_cbranch_execz .LBB1_250
; %bb.237:                              ;   in Loop: Header=BB1_221 Depth=2
	v_cvt_f64_u32_e32 v[14:15], v1
	v_mov_b32_e32 v18, 2
	s_mov_b32 s3, exec_lo
	s_delay_alu instid0(VALU_DEP_2)
	v_cmpx_ngt_f64_e32 v[76:77], v[14:15]
	s_cbranch_execz .LBB1_249
; %bb.238:                              ;   in Loop: Header=BB1_221 Depth=2
	v_cvt_f64_u32_e32 v[12:13], v7
	v_cmp_ngt_f64_e32 vcc_lo, v[78:79], v[14:15]
	v_cmp_nle_f64_e64 s0, v[76:77], v[14:15]
	v_mov_b32_e32 v18, 3
	s_delay_alu instid0(VALU_DEP_4) | instskip(SKIP_1) | instid1(SALU_CYCLE_1)
	v_cmp_ngt_f64_e64 s1, v[76:77], v[12:13]
	s_or_b32 s0, vcc_lo, s0
	s_or_b32 s4, s0, s1
	s_delay_alu instid0(SALU_CYCLE_1)
	s_and_saveexec_b32 s1, s4
	s_cbranch_execz .LBB1_248
; %bb.239:                              ;   in Loop: Header=BB1_221 Depth=2
	v_cmp_nle_f64_e32 vcc_lo, v[76:77], v[12:13]
	v_mov_b32_e32 v18, 4
	s_or_b32 s0, s0, vcc_lo
	s_delay_alu instid0(SALU_CYCLE_1)
	s_and_saveexec_b32 s4, s0
	s_cbranch_execz .LBB1_247
; %bb.240:                              ;   in Loop: Header=BB1_221 Depth=2
	v_cmp_nle_f64_e64 s6, v[78:79], v[14:15]
	v_cmp_ngt_f64_e64 s0, v[76:77], v[12:13]
	v_mov_b32_e32 v18, 5
	v_cmp_le_f64_e32 vcc_lo, v[78:79], v[14:15]
	s_or_b32 s0, s6, s0
	s_delay_alu instid0(SALU_CYCLE_1)
	s_and_saveexec_b32 s5, s0
	s_cbranch_execz .LBB1_246
; %bb.241:                              ;   in Loop: Header=BB1_221 Depth=2
	s_and_saveexec_b32 s7, vcc_lo
	s_cbranch_execz .LBB1_243
; %bb.242:                              ;   in Loop: Header=BB1_221 Depth=2
	v_cmp_nlt_f64_e32 vcc_lo, v[76:77], v[12:13]
	v_cmp_ngt_f64_e64 s0, v[78:79], v[12:13]
	s_and_not1_b32 s6, s6, exec_lo
	s_or_b32 s0, vcc_lo, s0
	s_delay_alu instid0(SALU_CYCLE_1) | instskip(NEXT) | instid1(SALU_CYCLE_1)
	s_and_b32 s0, s0, exec_lo
	s_or_b32 s6, s6, s0
.LBB1_243:                              ;   in Loop: Header=BB1_221 Depth=2
	s_or_b32 exec_lo, exec_lo, s7
	v_mov_b32_e32 v18, 6
	s_and_saveexec_b32 s0, s6
; %bb.244:                              ;   in Loop: Header=BB1_221 Depth=2
	v_mov_b32_e32 v18, 7
; %bb.245:                              ;   in Loop: Header=BB1_221 Depth=2
	s_or_b32 exec_lo, exec_lo, s0
.LBB1_246:                              ;   in Loop: Header=BB1_221 Depth=2
	s_delay_alu instid0(SALU_CYCLE_1)
	s_or_b32 exec_lo, exec_lo, s5
.LBB1_247:                              ;   in Loop: Header=BB1_221 Depth=2
	s_delay_alu instid0(SALU_CYCLE_1)
	s_or_b32 exec_lo, exec_lo, s4
.LBB1_248:                              ;   in Loop: Header=BB1_221 Depth=2
	s_delay_alu instid0(SALU_CYCLE_1)
	s_or_b32 exec_lo, exec_lo, s1
.LBB1_249:                              ;   in Loop: Header=BB1_221 Depth=2
	s_delay_alu instid0(SALU_CYCLE_1)
	s_or_b32 exec_lo, exec_lo, s3
.LBB1_250:                              ;   in Loop: Header=BB1_221 Depth=2
	s_delay_alu instid0(SALU_CYCLE_1) | instskip(NEXT) | instid1(SALU_CYCLE_1)
	s_or_b32 exec_lo, exec_lo, s2
	s_mov_b32 s2, exec_lo
	scratch_store_b32 off, v18, off offset:28
	s_wait_xcnt 0x0
	v_cmpx_lt_u32_e32 1, v2
	s_cbranch_execz .LBB1_264
; %bb.251:                              ;   in Loop: Header=BB1_221 Depth=2
	v_cvt_f64_u32_e32 v[14:15], v2
	v_mov_b32_e32 v11, 2
	s_mov_b32 s3, exec_lo
	s_delay_alu instid0(VALU_DEP_2)
	v_cmpx_ngt_f64_e32 v[76:77], v[14:15]
	s_cbranch_execz .LBB1_263
; %bb.252:                              ;   in Loop: Header=BB1_221 Depth=2
	v_cvt_f64_u32_e32 v[12:13], v8
	v_cmp_ngt_f64_e32 vcc_lo, v[78:79], v[14:15]
	v_cmp_nle_f64_e64 s0, v[76:77], v[14:15]
	v_mov_b32_e32 v11, 3
	s_delay_alu instid0(VALU_DEP_4) | instskip(SKIP_1) | instid1(SALU_CYCLE_1)
	v_cmp_ngt_f64_e64 s1, v[76:77], v[12:13]
	s_or_b32 s0, vcc_lo, s0
	s_or_b32 s4, s0, s1
	s_delay_alu instid0(SALU_CYCLE_1)
	s_and_saveexec_b32 s1, s4
	s_cbranch_execz .LBB1_262
; %bb.253:                              ;   in Loop: Header=BB1_221 Depth=2
	v_cmp_nle_f64_e32 vcc_lo, v[76:77], v[12:13]
	v_mov_b32_e32 v11, 4
	s_or_b32 s0, s0, vcc_lo
	s_delay_alu instid0(SALU_CYCLE_1)
	s_and_saveexec_b32 s4, s0
	s_cbranch_execz .LBB1_261
; %bb.254:                              ;   in Loop: Header=BB1_221 Depth=2
	v_cmp_nle_f64_e64 s6, v[78:79], v[14:15]
	v_cmp_ngt_f64_e64 s0, v[76:77], v[12:13]
	v_mov_b32_e32 v11, 5
	v_cmp_le_f64_e32 vcc_lo, v[78:79], v[14:15]
	s_or_b32 s0, s6, s0
	s_delay_alu instid0(SALU_CYCLE_1)
	s_and_saveexec_b32 s5, s0
	s_cbranch_execz .LBB1_260
; %bb.255:                              ;   in Loop: Header=BB1_221 Depth=2
	s_and_saveexec_b32 s7, vcc_lo
	s_cbranch_execz .LBB1_257
; %bb.256:                              ;   in Loop: Header=BB1_221 Depth=2
	v_cmp_nlt_f64_e32 vcc_lo, v[76:77], v[12:13]
	v_cmp_ngt_f64_e64 s0, v[78:79], v[12:13]
	s_and_not1_b32 s6, s6, exec_lo
	s_or_b32 s0, vcc_lo, s0
	s_delay_alu instid0(SALU_CYCLE_1) | instskip(NEXT) | instid1(SALU_CYCLE_1)
	s_and_b32 s0, s0, exec_lo
	s_or_b32 s6, s6, s0
.LBB1_257:                              ;   in Loop: Header=BB1_221 Depth=2
	s_or_b32 exec_lo, exec_lo, s7
	v_mov_b32_e32 v11, 6
	s_and_saveexec_b32 s0, s6
; %bb.258:                              ;   in Loop: Header=BB1_221 Depth=2
	v_mov_b32_e32 v11, 7
; %bb.259:                              ;   in Loop: Header=BB1_221 Depth=2
	s_or_b32 exec_lo, exec_lo, s0
.LBB1_260:                              ;   in Loop: Header=BB1_221 Depth=2
	s_delay_alu instid0(SALU_CYCLE_1)
	s_or_b32 exec_lo, exec_lo, s5
.LBB1_261:                              ;   in Loop: Header=BB1_221 Depth=2
	s_delay_alu instid0(SALU_CYCLE_1)
	s_or_b32 exec_lo, exec_lo, s4
.LBB1_262:                              ;   in Loop: Header=BB1_221 Depth=2
	s_delay_alu instid0(SALU_CYCLE_1)
	s_or_b32 exec_lo, exec_lo, s1
.LBB1_263:                              ;   in Loop: Header=BB1_221 Depth=2
	s_delay_alu instid0(SALU_CYCLE_1)
	s_or_b32 exec_lo, exec_lo, s3
.LBB1_264:                              ;   in Loop: Header=BB1_221 Depth=2
	s_delay_alu instid0(SALU_CYCLE_1) | instskip(NEXT) | instid1(SALU_CYCLE_1)
	s_or_b32 exec_lo, exec_lo, s2
	s_mov_b32 s2, exec_lo
	scratch_store_b32 off, v11, off offset:44
	s_wait_xcnt 0x0
	v_cmpx_lt_u32_e32 1, v3
	s_cbranch_execz .LBB1_278
; %bb.265:                              ;   in Loop: Header=BB1_221 Depth=2
	v_cvt_f64_u32_e32 v[14:15], v3
	v_mov_b32_e32 v17, 2
	s_mov_b32 s3, exec_lo
	s_delay_alu instid0(VALU_DEP_2)
	v_cmpx_ngt_f64_e32 v[76:77], v[14:15]
	s_cbranch_execz .LBB1_277
; %bb.266:                              ;   in Loop: Header=BB1_221 Depth=2
	v_cvt_f64_u32_e32 v[12:13], v9
	v_cmp_ngt_f64_e32 vcc_lo, v[78:79], v[14:15]
	v_cmp_nle_f64_e64 s0, v[76:77], v[14:15]
	v_mov_b32_e32 v17, 3
	s_delay_alu instid0(VALU_DEP_4) | instskip(SKIP_1) | instid1(SALU_CYCLE_1)
	v_cmp_ngt_f64_e64 s1, v[76:77], v[12:13]
	s_or_b32 s0, vcc_lo, s0
	s_or_b32 s4, s0, s1
	s_delay_alu instid0(SALU_CYCLE_1)
	s_and_saveexec_b32 s1, s4
	s_cbranch_execz .LBB1_276
; %bb.267:                              ;   in Loop: Header=BB1_221 Depth=2
	v_cmp_nle_f64_e32 vcc_lo, v[76:77], v[12:13]
	v_mov_b32_e32 v17, 4
	s_or_b32 s0, s0, vcc_lo
	s_delay_alu instid0(SALU_CYCLE_1)
	s_and_saveexec_b32 s4, s0
	s_cbranch_execz .LBB1_275
; %bb.268:                              ;   in Loop: Header=BB1_221 Depth=2
	v_cmp_nle_f64_e64 s6, v[78:79], v[14:15]
	v_cmp_ngt_f64_e64 s0, v[76:77], v[12:13]
	v_mov_b32_e32 v17, 5
	v_cmp_le_f64_e32 vcc_lo, v[78:79], v[14:15]
	s_or_b32 s0, s6, s0
	s_delay_alu instid0(SALU_CYCLE_1)
	s_and_saveexec_b32 s5, s0
	s_cbranch_execz .LBB1_274
; %bb.269:                              ;   in Loop: Header=BB1_221 Depth=2
	s_and_saveexec_b32 s7, vcc_lo
	s_cbranch_execz .LBB1_271
; %bb.270:                              ;   in Loop: Header=BB1_221 Depth=2
	v_cmp_nlt_f64_e32 vcc_lo, v[76:77], v[12:13]
	v_cmp_ngt_f64_e64 s0, v[78:79], v[12:13]
	s_and_not1_b32 s6, s6, exec_lo
	s_or_b32 s0, vcc_lo, s0
	s_delay_alu instid0(SALU_CYCLE_1) | instskip(NEXT) | instid1(SALU_CYCLE_1)
	s_and_b32 s0, s0, exec_lo
	s_or_b32 s6, s6, s0
.LBB1_271:                              ;   in Loop: Header=BB1_221 Depth=2
	s_or_b32 exec_lo, exec_lo, s7
	v_mov_b32_e32 v17, 6
	s_and_saveexec_b32 s0, s6
; %bb.272:                              ;   in Loop: Header=BB1_221 Depth=2
	v_mov_b32_e32 v17, 7
; %bb.273:                              ;   in Loop: Header=BB1_221 Depth=2
	s_or_b32 exec_lo, exec_lo, s0
.LBB1_274:                              ;   in Loop: Header=BB1_221 Depth=2
	s_delay_alu instid0(SALU_CYCLE_1)
	s_or_b32 exec_lo, exec_lo, s5
.LBB1_275:                              ;   in Loop: Header=BB1_221 Depth=2
	s_delay_alu instid0(SALU_CYCLE_1)
	s_or_b32 exec_lo, exec_lo, s4
.LBB1_276:                              ;   in Loop: Header=BB1_221 Depth=2
	s_delay_alu instid0(SALU_CYCLE_1)
	s_or_b32 exec_lo, exec_lo, s1
.LBB1_277:                              ;   in Loop: Header=BB1_221 Depth=2
	s_delay_alu instid0(SALU_CYCLE_1)
	s_or_b32 exec_lo, exec_lo, s3
.LBB1_278:                              ;   in Loop: Header=BB1_221 Depth=2
	s_delay_alu instid0(SALU_CYCLE_1) | instskip(NEXT) | instid1(SALU_CYCLE_1)
	s_or_b32 exec_lo, exec_lo, s2
	s_mov_b32 s1, exec_lo
	scratch_store_b32 off, v17, off offset:60
                                        ; implicit-def: $sgpr0
	s_wait_xcnt 0x0
	v_cmpx_ne_u32_e64 v16, v18
	s_xor_b32 s1, exec_lo, s1
	s_cbranch_execnz .LBB1_349
; %bb.279:                              ;   in Loop: Header=BB1_221 Depth=2
	s_and_not1_saveexec_b32 s1, s1
	s_cbranch_execnz .LBB1_350
.LBB1_280:                              ;   in Loop: Header=BB1_221 Depth=2
	s_or_b32 exec_lo, exec_lo, s1
	s_and_saveexec_b32 s1, s0
	s_cbranch_execz .LBB1_282
.LBB1_281:                              ;   in Loop: Header=BB1_221 Depth=2
	scratch_load_b128 v[12:15], off, s60
	scratch_load_b128 v[18:21], off, off
	s_wait_loadcnt 0x1
	s_clause 0x1
	scratch_store_b128 off, v[12:15], off
	scratch_load_b32 v16, off, off offset:12
	s_wait_loadcnt 0x1
	ds_store_2addr_b32 v97, v20, v21 offset0:2 offset1:3
	ds_store_2addr_b32 v97, v18, v19 offset1:1
	scratch_store_b128 off, v[18:21], s60
.LBB1_282:                              ;   in Loop: Header=BB1_221 Depth=2
	s_wait_xcnt 0x0
	s_or_b32 exec_lo, exec_lo, s1
	s_delay_alu instid0(SALU_CYCLE_1)
	s_mov_b32 s1, exec_lo
                                        ; implicit-def: $sgpr0
	s_wait_loadcnt 0x0
	v_cmpx_ne_u32_e64 v16, v11
	s_xor_b32 s1, exec_lo, s1
	s_cbranch_execnz .LBB1_355
; %bb.283:                              ;   in Loop: Header=BB1_221 Depth=2
	s_and_not1_saveexec_b32 s1, s1
	s_cbranch_execnz .LBB1_356
.LBB1_284:                              ;   in Loop: Header=BB1_221 Depth=2
	s_or_b32 exec_lo, exec_lo, s1
	s_and_saveexec_b32 s1, s0
	s_cbranch_execz .LBB1_286
.LBB1_285:                              ;   in Loop: Header=BB1_221 Depth=2
	scratch_load_b128 v[10:13], off, s61
	scratch_load_b128 v[18:21], off, off
	s_wait_loadcnt 0x1
	s_clause 0x1
	scratch_store_b128 off, v[10:13], off
	scratch_load_b32 v16, off, off offset:12
	s_wait_loadcnt 0x1
	ds_store_2addr_b32 v97, v20, v21 offset0:2 offset1:3
	ds_store_2addr_b32 v97, v18, v19 offset1:1
	scratch_store_b128 off, v[18:21], s61
.LBB1_286:                              ;   in Loop: Header=BB1_221 Depth=2
	s_wait_xcnt 0x0
	s_or_b32 exec_lo, exec_lo, s1
	s_delay_alu instid0(SALU_CYCLE_1)
	s_mov_b32 s1, exec_lo
                                        ; implicit-def: $sgpr0
	s_wait_loadcnt 0x0
	v_cmpx_ne_u32_e64 v16, v17
	s_xor_b32 s1, exec_lo, s1
	s_cbranch_execnz .LBB1_361
; %bb.287:                              ;   in Loop: Header=BB1_221 Depth=2
	s_and_not1_saveexec_b32 s1, s1
	s_cbranch_execnz .LBB1_362
.LBB1_288:                              ;   in Loop: Header=BB1_221 Depth=2
	s_or_b32 exec_lo, exec_lo, s1
	s_and_saveexec_b32 s1, s0
	s_cbranch_execz .LBB1_290
.LBB1_289:                              ;   in Loop: Header=BB1_221 Depth=2
	scratch_load_b128 v[0:3], off, s62
	scratch_load_b128 v[6:9], off, off
	s_wait_loadcnt 0x1
	s_clause 0x1
	scratch_store_b128 off, v[0:3], off
	scratch_load_b32 v16, off, off offset:12
	s_wait_loadcnt 0x1
	ds_store_2addr_b32 v97, v8, v9 offset0:2 offset1:3
	ds_store_2addr_b32 v97, v6, v7 offset1:1
	scratch_store_b128 off, v[6:9], s62
.LBB1_290:                              ;   in Loop: Header=BB1_221 Depth=2
	s_wait_xcnt 0x0
	s_or_b32 exec_lo, exec_lo, s1
	scratch_load_b32 v0, off, off offset:28
	s_mov_b32 s1, exec_lo
                                        ; implicit-def: $sgpr0
	s_wait_loadcnt 0x0
	v_cmpx_ne_u32_e64 v0, v16
	s_xor_b32 s1, exec_lo, s1
	s_cbranch_execnz .LBB1_367
; %bb.291:                              ;   in Loop: Header=BB1_221 Depth=2
	s_and_not1_saveexec_b32 s1, s1
	s_cbranch_execnz .LBB1_368
.LBB1_292:                              ;   in Loop: Header=BB1_221 Depth=2
	s_or_b32 exec_lo, exec_lo, s1
	s_and_saveexec_b32 s1, s0
	s_cbranch_execz .LBB1_294
.LBB1_293:                              ;   in Loop: Header=BB1_221 Depth=2
	scratch_load_b128 v[0:3], off, off
	scratch_load_b128 v[6:9], off, s60
	s_wait_loadcnt 0x1
	scratch_store_b128 off, v[0:3], s60
	scratch_load_b32 v0, off, off offset:28
	s_wait_loadcnt 0x1
	ds_store_2addr_b32 v97, v8, v9 offset0:2 offset1:3
	ds_store_2addr_b32 v97, v6, v7 offset1:1
	scratch_store_b128 off, v[6:9], off
.LBB1_294:                              ;   in Loop: Header=BB1_221 Depth=2
	s_wait_xcnt 0x0
	s_or_b32 exec_lo, exec_lo, s1
	scratch_load_b32 v1, off, off offset:44
	s_mov_b32 s1, exec_lo
                                        ; implicit-def: $sgpr0
	s_wait_loadcnt 0x0
	v_cmpx_ne_u32_e64 v0, v1
	s_xor_b32 s1, exec_lo, s1
	s_cbranch_execnz .LBB1_373
; %bb.295:                              ;   in Loop: Header=BB1_221 Depth=2
	s_and_not1_saveexec_b32 s1, s1
	s_cbranch_execnz .LBB1_374
.LBB1_296:                              ;   in Loop: Header=BB1_221 Depth=2
	s_or_b32 exec_lo, exec_lo, s1
	s_and_saveexec_b32 s1, s0
	s_cbranch_execz .LBB1_298
.LBB1_297:                              ;   in Loop: Header=BB1_221 Depth=2
	s_clause 0x1
	scratch_load_b128 v[0:3], off, s61
	scratch_load_b128 v[6:9], off, s60
	s_wait_loadcnt 0x1
	scratch_store_b128 off, v[0:3], s60
	scratch_load_b32 v0, off, off offset:28
	s_wait_loadcnt 0x1
	ds_store_2addr_b32 v97, v8, v9 offset0:2 offset1:3
	ds_store_2addr_b32 v97, v6, v7 offset1:1
	scratch_store_b128 off, v[6:9], s61
.LBB1_298:                              ;   in Loop: Header=BB1_221 Depth=2
	s_wait_xcnt 0x0
	s_or_b32 exec_lo, exec_lo, s1
	scratch_load_b32 v1, off, off offset:60
	s_mov_b32 s1, exec_lo
                                        ; implicit-def: $sgpr0
	s_wait_loadcnt 0x0
	v_cmpx_ne_u32_e64 v0, v1
	s_xor_b32 s1, exec_lo, s1
	s_cbranch_execnz .LBB1_379
; %bb.299:                              ;   in Loop: Header=BB1_221 Depth=2
	s_and_not1_saveexec_b32 s1, s1
	s_cbranch_execnz .LBB1_380
.LBB1_300:                              ;   in Loop: Header=BB1_221 Depth=2
	s_or_b32 exec_lo, exec_lo, s1
	s_and_saveexec_b32 s1, s0
	s_cbranch_execz .LBB1_302
.LBB1_301:                              ;   in Loop: Header=BB1_221 Depth=2
	s_clause 0x1
	scratch_load_b128 v[0:3], off, s60
	scratch_load_b128 v[6:9], off, s62
	s_wait_loadcnt 0x1
	ds_store_2addr_b32 v97, v2, v3 offset0:2 offset1:3
	ds_store_2addr_b32 v97, v0, v1 offset1:1
	s_wait_loadcnt 0x0
	s_clause 0x1
	scratch_store_b128 off, v[6:9], s60
	scratch_store_b128 off, v[0:3], s62
.LBB1_302:                              ;   in Loop: Header=BB1_221 Depth=2
	s_wait_xcnt 0x0
	s_or_b32 exec_lo, exec_lo, s1
	s_clause 0x1
	scratch_load_b32 v1, off, off offset:44
	scratch_load_b32 v0, off, off offset:12
	s_mov_b32 s1, exec_lo
                                        ; implicit-def: $sgpr0
	s_wait_loadcnt 0x0
	v_cmpx_ne_u32_e64 v1, v0
	s_xor_b32 s1, exec_lo, s1
	s_cbranch_execnz .LBB1_385
; %bb.303:                              ;   in Loop: Header=BB1_221 Depth=2
	s_and_not1_saveexec_b32 s1, s1
	s_cbranch_execnz .LBB1_386
.LBB1_304:                              ;   in Loop: Header=BB1_221 Depth=2
	s_or_b32 exec_lo, exec_lo, s1
	s_and_saveexec_b32 s1, s0
	s_cbranch_execz .LBB1_306
.LBB1_305:                              ;   in Loop: Header=BB1_221 Depth=2
	scratch_load_b128 v[0:3], off, off
	scratch_load_b128 v[6:9], off, s61
	s_wait_loadcnt 0x1
	scratch_store_b128 off, v[0:3], s61
	scratch_load_b32 v1, off, off offset:44
	s_wait_loadcnt 0x1
	ds_store_2addr_b32 v97, v8, v9 offset0:2 offset1:3
	ds_store_2addr_b32 v97, v6, v7 offset1:1
	scratch_store_b128 off, v[6:9], off
.LBB1_306:                              ;   in Loop: Header=BB1_221 Depth=2
	s_wait_xcnt 0x0
	s_or_b32 exec_lo, exec_lo, s1
	scratch_load_b32 v0, off, off offset:28
	s_mov_b32 s1, exec_lo
                                        ; implicit-def: $sgpr0
	s_wait_loadcnt 0x0
	v_cmpx_ne_u32_e64 v1, v0
	s_xor_b32 s1, exec_lo, s1
	s_cbranch_execnz .LBB1_391
; %bb.307:                              ;   in Loop: Header=BB1_221 Depth=2
	s_and_not1_saveexec_b32 s1, s1
	s_cbranch_execnz .LBB1_392
.LBB1_308:                              ;   in Loop: Header=BB1_221 Depth=2
	s_or_b32 exec_lo, exec_lo, s1
	s_and_saveexec_b32 s1, s0
	s_cbranch_execz .LBB1_310
.LBB1_309:                              ;   in Loop: Header=BB1_221 Depth=2
	s_clause 0x1
	scratch_load_b128 v[0:3], off, s60
	scratch_load_b128 v[6:9], off, s61
	s_wait_loadcnt 0x1
	scratch_store_b128 off, v[0:3], s61
	scratch_load_b32 v1, off, off offset:44
	s_wait_loadcnt 0x1
	ds_store_2addr_b32 v97, v8, v9 offset0:2 offset1:3
	ds_store_2addr_b32 v97, v6, v7 offset1:1
	scratch_store_b128 off, v[6:9], s60
.LBB1_310:                              ;   in Loop: Header=BB1_221 Depth=2
	s_wait_xcnt 0x0
	s_or_b32 exec_lo, exec_lo, s1
	scratch_load_b32 v0, off, off offset:60
	s_mov_b32 s1, exec_lo
                                        ; implicit-def: $sgpr0
	s_wait_loadcnt 0x0
	v_cmpx_ne_u32_e64 v1, v0
	s_xor_b32 s1, exec_lo, s1
	s_cbranch_execnz .LBB1_397
; %bb.311:                              ;   in Loop: Header=BB1_221 Depth=2
	s_and_not1_saveexec_b32 s1, s1
	s_cbranch_execnz .LBB1_398
.LBB1_312:                              ;   in Loop: Header=BB1_221 Depth=2
	s_or_b32 exec_lo, exec_lo, s1
	s_and_saveexec_b32 s1, s0
	s_cbranch_execz .LBB1_314
.LBB1_313:                              ;   in Loop: Header=BB1_221 Depth=2
	s_clause 0x1
	scratch_load_b128 v[6:9], off, s61
	scratch_load_b128 v[10:13], off, s62
	s_wait_loadcnt 0x1
	scratch_store_b128 off, v[6:9], s62
	s_wait_loadcnt 0x0
	scratch_store_b128 off, v[10:13], s61
	scratch_load_b32 v0, off, off offset:60
	ds_store_2addr_b32 v97, v8, v9 offset0:2 offset1:3
	ds_store_2addr_b32 v97, v6, v7 offset1:1
.LBB1_314:                              ;   in Loop: Header=BB1_221 Depth=2
	s_wait_xcnt 0x0
	s_or_b32 exec_lo, exec_lo, s1
	scratch_load_b32 v1, off, off offset:12
	s_mov_b32 s1, exec_lo
                                        ; implicit-def: $sgpr0
	s_wait_loadcnt 0x0
	v_cmpx_ne_u32_e64 v0, v1
	s_xor_b32 s1, exec_lo, s1
	s_cbranch_execnz .LBB1_403
; %bb.315:                              ;   in Loop: Header=BB1_221 Depth=2
	s_and_not1_saveexec_b32 s1, s1
	s_cbranch_execnz .LBB1_404
.LBB1_316:                              ;   in Loop: Header=BB1_221 Depth=2
	s_or_b32 exec_lo, exec_lo, s1
	s_and_saveexec_b32 s1, s0
	s_cbranch_execz .LBB1_318
.LBB1_317:                              ;   in Loop: Header=BB1_221 Depth=2
	scratch_load_b128 v[0:3], off, off
	scratch_load_b128 v[6:9], off, s62
	s_wait_loadcnt 0x1
	scratch_store_b128 off, v[0:3], s62
	scratch_load_b32 v0, off, off offset:60
	s_wait_loadcnt 0x1
	ds_store_2addr_b32 v97, v8, v9 offset0:2 offset1:3
	ds_store_2addr_b32 v97, v6, v7 offset1:1
	scratch_store_b128 off, v[6:9], off
.LBB1_318:                              ;   in Loop: Header=BB1_221 Depth=2
	s_wait_xcnt 0x0
	s_or_b32 exec_lo, exec_lo, s1
	scratch_load_b32 v1, off, off offset:28
	s_mov_b32 s1, exec_lo
                                        ; implicit-def: $sgpr0
	s_wait_loadcnt 0x0
	v_cmpx_ne_u32_e64 v0, v1
	s_xor_b32 s1, exec_lo, s1
	s_cbranch_execnz .LBB1_409
; %bb.319:                              ;   in Loop: Header=BB1_221 Depth=2
	s_and_not1_saveexec_b32 s1, s1
	s_cbranch_execnz .LBB1_410
.LBB1_320:                              ;   in Loop: Header=BB1_221 Depth=2
	s_or_b32 exec_lo, exec_lo, s1
	s_and_saveexec_b32 s1, s0
	s_cbranch_execz .LBB1_322
.LBB1_321:                              ;   in Loop: Header=BB1_221 Depth=2
	s_clause 0x1
	scratch_load_b128 v[0:3], off, s60
	scratch_load_b128 v[6:9], off, s62
	s_wait_loadcnt 0x1
	scratch_store_b128 off, v[0:3], s62
	scratch_load_b32 v0, off, off offset:60
	s_wait_loadcnt 0x1
	ds_store_2addr_b32 v97, v8, v9 offset0:2 offset1:3
	ds_store_2addr_b32 v97, v6, v7 offset1:1
	scratch_store_b128 off, v[6:9], s60
.LBB1_322:                              ;   in Loop: Header=BB1_221 Depth=2
	s_wait_xcnt 0x0
	s_or_b32 exec_lo, exec_lo, s1
	scratch_load_b32 v1, off, off offset:44
	s_mov_b32 s1, exec_lo
                                        ; implicit-def: $sgpr0
	s_wait_loadcnt 0x0
	v_cmpx_ne_u32_e64 v0, v1
	s_xor_b32 s1, exec_lo, s1
	s_cbranch_execnz .LBB1_415
; %bb.323:                              ;   in Loop: Header=BB1_221 Depth=2
	s_and_not1_saveexec_b32 s1, s1
	s_cbranch_execnz .LBB1_416
.LBB1_324:                              ;   in Loop: Header=BB1_221 Depth=2
	s_or_b32 exec_lo, exec_lo, s1
	s_and_saveexec_b32 s1, s0
	s_cbranch_execz .LBB1_326
.LBB1_325:                              ;   in Loop: Header=BB1_221 Depth=2
	s_clause 0x1
	scratch_load_b128 v[0:3], off, s62
	scratch_load_b128 v[6:9], off, s61
	s_wait_loadcnt 0x1
	ds_store_2addr_b32 v97, v2, v3 offset0:2 offset1:3
	ds_store_2addr_b32 v97, v0, v1 offset1:1
	s_wait_loadcnt 0x0
	s_clause 0x1
	scratch_store_b128 off, v[6:9], s62
	scratch_store_b128 off, v[0:3], s61
.LBB1_326:                              ;   in Loop: Header=BB1_221 Depth=2
	s_wait_xcnt 0x0
	s_or_b32 exec_lo, exec_lo, s1
	s_clause 0x1
	scratch_load_b32 v33, off, off offset:12
	scratch_load_b32 v32, off, off offset:28
	s_mov_b32 s19, exec_lo
	s_wait_loadcnt 0x0
	v_cmpx_lt_i32_e64 v33, v32
	s_cbranch_execz .LBB1_531
; %bb.327:                              ;   in Loop: Header=BB1_221 Depth=2
	s_load_b64 s[2:3], s[8:9], 0x50
	v_readfirstlane_b32 s0, v100
	v_mov_b64_e32 v[6:7], 0
	s_delay_alu instid0(VALU_DEP_2)
	v_cmp_eq_u32_e64 s0, s0, v100
	s_and_saveexec_b32 s1, s0
	s_cbranch_execz .LBB1_333
; %bb.328:                              ;   in Loop: Header=BB1_221 Depth=2
	s_wait_kmcnt 0x0
	global_load_b64 v[2:3], v45, s[2:3] offset:24 scope:SCOPE_SYS
	s_wait_loadcnt 0x0
	global_inv scope:SCOPE_SYS
	s_clause 0x1
	global_load_b64 v[0:1], v45, s[2:3] offset:40
	global_load_b64 v[6:7], v45, s[2:3]
	s_mov_b32 s4, exec_lo
	s_wait_loadcnt 0x1
	v_and_b32_e32 v0, v0, v2
	v_and_b32_e32 v1, v1, v3
	s_delay_alu instid0(VALU_DEP_1) | instskip(SKIP_1) | instid1(VALU_DEP_1)
	v_mul_u64_e32 v[0:1], 24, v[0:1]
	s_wait_loadcnt 0x0
	v_add_nc_u64_e32 v[0:1], v[6:7], v[0:1]
	global_load_b64 v[0:1], v[0:1], off scope:SCOPE_SYS
	s_wait_xcnt 0x0
	s_wait_loadcnt 0x0
	global_atomic_cmpswap_b64 v[6:7], v45, v[0:3], s[2:3] offset:24 th:TH_ATOMIC_RETURN scope:SCOPE_SYS
	s_wait_loadcnt 0x0
	global_inv scope:SCOPE_SYS
	s_wait_xcnt 0x0
	v_cmpx_ne_u64_e64 v[6:7], v[2:3]
	s_cbranch_execz .LBB1_332
; %bb.329:                              ;   in Loop: Header=BB1_221 Depth=2
	s_mov_b32 s5, 0
.LBB1_330:                              ;   Parent Loop BB1_13 Depth=1
                                        ;     Parent Loop BB1_221 Depth=2
                                        ; =>    This Inner Loop Header: Depth=3
	s_sleep 1
	s_clause 0x1
	global_load_b64 v[0:1], v45, s[2:3] offset:40
	global_load_b64 v[8:9], v45, s[2:3]
	v_mov_b64_e32 v[2:3], v[6:7]
	s_wait_loadcnt 0x1
	s_delay_alu instid0(VALU_DEP_1) | instskip(SKIP_1) | instid1(VALU_DEP_1)
	v_and_b32_e32 v0, v0, v2
	s_wait_loadcnt 0x0
	v_mad_nc_u64_u32 v[6:7], v0, 24, v[8:9]
	s_delay_alu instid0(VALU_DEP_3) | instskip(NEXT) | instid1(VALU_DEP_1)
	v_and_b32_e32 v0, v1, v3
	v_mad_u32 v7, v0, 24, v7
	global_load_b64 v[0:1], v[6:7], off scope:SCOPE_SYS
	s_wait_xcnt 0x0
	s_wait_loadcnt 0x0
	global_atomic_cmpswap_b64 v[6:7], v45, v[0:3], s[2:3] offset:24 th:TH_ATOMIC_RETURN scope:SCOPE_SYS
	s_wait_loadcnt 0x0
	global_inv scope:SCOPE_SYS
	v_cmp_eq_u64_e32 vcc_lo, v[6:7], v[2:3]
	s_or_b32 s5, vcc_lo, s5
	s_wait_xcnt 0x0
	s_and_not1_b32 exec_lo, exec_lo, s5
	s_cbranch_execnz .LBB1_330
; %bb.331:                              ;   in Loop: Header=BB1_221 Depth=2
	s_or_b32 exec_lo, exec_lo, s5
.LBB1_332:                              ;   in Loop: Header=BB1_221 Depth=2
	s_delay_alu instid0(SALU_CYCLE_1)
	s_or_b32 exec_lo, exec_lo, s4
.LBB1_333:                              ;   in Loop: Header=BB1_221 Depth=2
	s_delay_alu instid0(SALU_CYCLE_1)
	s_or_b32 exec_lo, exec_lo, s1
	s_wait_kmcnt 0x0
	s_clause 0x1
	global_load_b64 v[8:9], v45, s[2:3] offset:40
	global_load_b128 v[0:3], v45, s[2:3]
	v_readfirstlane_b32 s4, v6
	v_readfirstlane_b32 s5, v7
	s_mov_b32 s1, exec_lo
	s_wait_loadcnt 0x1
	v_and_b32_e32 v8, s4, v8
	v_and_b32_e32 v9, s5, v9
	s_delay_alu instid0(VALU_DEP_1) | instskip(SKIP_1) | instid1(VALU_DEP_1)
	v_mul_u64_e32 v[6:7], 24, v[8:9]
	s_wait_loadcnt 0x0
	v_add_nc_u64_e32 v[6:7], v[0:1], v[6:7]
	s_wait_xcnt 0x0
	s_and_saveexec_b32 s6, s0
	s_cbranch_execz .LBB1_335
; %bb.334:                              ;   in Loop: Header=BB1_221 Depth=2
	v_mov_b32_e32 v44, s1
	global_store_b128 v[6:7], v[44:47], off offset:8
.LBB1_335:                              ;   in Loop: Header=BB1_221 Depth=2
	s_wait_xcnt 0x0
	s_or_b32 exec_lo, exec_lo, s6
	v_lshlrev_b64_e32 v[8:9], 12, v[8:9]
	s_mov_b32 s41, s40
	s_mov_b32 s42, s40
	;; [unrolled: 1-line block ×3, first 2 shown]
	v_mov_b64_e32 v[10:11], s[40:41]
	v_mov_b64_e32 v[12:13], s[42:43]
	v_dual_mov_b32 v55, v45 :: v_dual_lshlrev_b32 v28, 6, v100
	v_add_nc_u64_e32 v[8:9], v[2:3], v[8:9]
	v_dual_mov_b32 v56, v45 :: v_dual_mov_b32 v57, v45
	s_delay_alu instid0(VALU_DEP_2) | instskip(NEXT) | instid1(VALU_DEP_3)
	v_readfirstlane_b32 s6, v8
	v_readfirstlane_b32 s7, v9
	s_clause 0x3
	global_store_b128 v28, v[54:57], s[6:7]
	global_store_b128 v28, v[10:13], s[6:7] offset:16
	global_store_b128 v28, v[10:13], s[6:7] offset:32
	;; [unrolled: 1-line block ×3, first 2 shown]
	s_wait_xcnt 0x0
	s_and_saveexec_b32 s1, s0
	s_cbranch_execz .LBB1_343
; %bb.336:                              ;   in Loop: Header=BB1_221 Depth=2
	s_clause 0x1
	global_load_b64 v[14:15], v45, s[2:3] offset:32 scope:SCOPE_SYS
	global_load_b64 v[2:3], v45, s[2:3] offset:40
	s_mov_b32 s6, exec_lo
	v_dual_mov_b32 v12, s4 :: v_dual_mov_b32 v13, s5
	s_wait_loadcnt 0x0
	v_and_b32_e32 v3, s5, v3
	v_and_b32_e32 v2, s4, v2
	s_delay_alu instid0(VALU_DEP_1) | instskip(NEXT) | instid1(VALU_DEP_1)
	v_mul_u64_e32 v[2:3], 24, v[2:3]
	v_add_nc_u64_e32 v[10:11], v[0:1], v[2:3]
	global_store_b64 v[10:11], v[14:15], off
	global_wb scope:SCOPE_SYS
	s_wait_storecnt 0x0
	s_wait_xcnt 0x0
	global_atomic_cmpswap_b64 v[2:3], v45, v[12:15], s[2:3] offset:32 th:TH_ATOMIC_RETURN scope:SCOPE_SYS
	s_wait_loadcnt 0x0
	v_cmpx_ne_u64_e64 v[2:3], v[14:15]
	s_cbranch_execz .LBB1_339
; %bb.337:                              ;   in Loop: Header=BB1_221 Depth=2
	s_mov_b32 s7, 0
.LBB1_338:                              ;   Parent Loop BB1_13 Depth=1
                                        ;     Parent Loop BB1_221 Depth=2
                                        ; =>    This Inner Loop Header: Depth=3
	v_dual_mov_b32 v0, s4 :: v_dual_mov_b32 v1, s5
	s_sleep 1
	global_store_b64 v[10:11], v[2:3], off
	global_wb scope:SCOPE_SYS
	s_wait_storecnt 0x0
	s_wait_xcnt 0x0
	global_atomic_cmpswap_b64 v[0:1], v45, v[0:3], s[2:3] offset:32 th:TH_ATOMIC_RETURN scope:SCOPE_SYS
	s_wait_loadcnt 0x0
	v_cmp_eq_u64_e32 vcc_lo, v[0:1], v[2:3]
	v_mov_b64_e32 v[2:3], v[0:1]
	s_or_b32 s7, vcc_lo, s7
	s_delay_alu instid0(SALU_CYCLE_1)
	s_and_not1_b32 exec_lo, exec_lo, s7
	s_cbranch_execnz .LBB1_338
.LBB1_339:                              ;   in Loop: Header=BB1_221 Depth=2
	s_or_b32 exec_lo, exec_lo, s6
	global_load_b64 v[0:1], v45, s[2:3] offset:16
	s_mov_b32 s7, exec_lo
	s_mov_b32 s6, exec_lo
	v_mbcnt_lo_u32_b32 v2, s7, 0
	s_wait_xcnt 0x0
	s_delay_alu instid0(VALU_DEP_1)
	v_cmpx_eq_u32_e32 0, v2
	s_cbranch_execz .LBB1_341
; %bb.340:                              ;   in Loop: Header=BB1_221 Depth=2
	s_bcnt1_i32_b32 s7, s7
	s_delay_alu instid0(SALU_CYCLE_1)
	v_mov_b32_e32 v44, s7
	global_wb scope:SCOPE_SYS
	s_wait_loadcnt 0x0
	s_wait_storecnt 0x0
	global_atomic_add_u64 v[0:1], v[44:45], off offset:8 scope:SCOPE_SYS
.LBB1_341:                              ;   in Loop: Header=BB1_221 Depth=2
	s_wait_xcnt 0x0
	s_or_b32 exec_lo, exec_lo, s6
	s_wait_loadcnt 0x0
	global_load_b64 v[2:3], v[0:1], off offset:16
	s_wait_loadcnt 0x0
	v_cmp_eq_u64_e32 vcc_lo, 0, v[2:3]
	s_cbranch_vccnz .LBB1_343
; %bb.342:                              ;   in Loop: Header=BB1_221 Depth=2
	global_load_b32 v44, v[0:1], off offset:24
	s_wait_loadcnt 0x0
	v_readfirstlane_b32 s6, v44
	global_wb scope:SCOPE_SYS
	s_wait_storecnt 0x0
	s_wait_xcnt 0x0
	global_store_b64 v[2:3], v[44:45], off scope:SCOPE_SYS
	s_and_b32 m0, s6, 0xffffff
	s_sendmsg sendmsg(MSG_INTERRUPT)
.LBB1_343:                              ;   in Loop: Header=BB1_221 Depth=2
	s_wait_xcnt 0x0
	s_or_b32 exec_lo, exec_lo, s1
	v_mov_b32_e32 v29, v45
	s_delay_alu instid0(VALU_DEP_1)
	v_add_nc_u64_e32 v[0:1], v[8:9], v[28:29]
	s_branch .LBB1_347
.LBB1_344:                              ;   in Loop: Header=BB1_347 Depth=3
	s_wait_xcnt 0x0
	s_or_b32 exec_lo, exec_lo, s1
	s_delay_alu instid0(VALU_DEP_1)
	v_readfirstlane_b32 s1, v2
	s_cmp_eq_u32 s1, 0
	s_cbranch_scc1 .LBB1_346
; %bb.345:                              ;   in Loop: Header=BB1_347 Depth=3
	s_sleep 1
	s_cbranch_execnz .LBB1_347
	s_branch .LBB1_421
.LBB1_346:                              ;   in Loop: Header=BB1_221 Depth=2
	s_branch .LBB1_421
.LBB1_347:                              ;   Parent Loop BB1_13 Depth=1
                                        ;     Parent Loop BB1_221 Depth=2
                                        ; =>    This Inner Loop Header: Depth=3
	v_mov_b32_e32 v2, 1
	s_and_saveexec_b32 s1, s0
	s_cbranch_execz .LBB1_344
; %bb.348:                              ;   in Loop: Header=BB1_347 Depth=3
	global_load_b32 v2, v[6:7], off offset:20 scope:SCOPE_SYS
	s_wait_loadcnt 0x0
	global_inv scope:SCOPE_SYS
	v_and_b32_e32 v2, 1, v2
	s_branch .LBB1_344
.LBB1_349:                              ;   in Loop: Header=BB1_221 Depth=2
	v_cmp_gt_u32_e64 s0, v16, v18
	s_and_not1_saveexec_b32 s1, s1
	s_cbranch_execz .LBB1_280
.LBB1_350:                              ;   in Loop: Header=BB1_221 Depth=2
	s_mov_b32 s3, exec_lo
                                        ; implicit-def: $sgpr2
	v_cmpx_ne_u32_e64 v6, v7
	s_xor_b32 s3, exec_lo, s3
; %bb.351:                              ;   in Loop: Header=BB1_221 Depth=2
	v_cmp_gt_u32_e64 s2, v6, v7
; %bb.352:                              ;   in Loop: Header=BB1_221 Depth=2
	s_and_not1_saveexec_b32 s3, s3
; %bb.353:                              ;   in Loop: Header=BB1_221 Depth=2
	v_cmp_ge_u32_e32 vcc_lo, v0, v1
	s_delay_alu instid0(VALU_DEP_2) | instskip(SKIP_1) | instid1(SALU_CYCLE_1)
	s_and_not1_b32 s2, s2, exec_lo
	s_and_b32 s4, vcc_lo, exec_lo
	s_or_b32 s2, s2, s4
; %bb.354:                              ;   in Loop: Header=BB1_221 Depth=2
	s_or_b32 exec_lo, exec_lo, s3
	s_delay_alu instid0(SALU_CYCLE_1) | instskip(SKIP_1) | instid1(SALU_CYCLE_1)
	s_and_not1_b32 s0, s0, exec_lo
	s_and_b32 s2, s2, exec_lo
	s_or_b32 s0, s0, s2
	s_or_b32 exec_lo, exec_lo, s1
	s_and_saveexec_b32 s1, s0
	s_cbranch_execnz .LBB1_281
	s_branch .LBB1_282
.LBB1_355:                              ;   in Loop: Header=BB1_221 Depth=2
	v_cmp_gt_u32_e64 s0, v16, v11
	s_and_not1_saveexec_b32 s1, s1
	s_cbranch_execz .LBB1_284
.LBB1_356:                              ;   in Loop: Header=BB1_221 Depth=2
	scratch_load_b32 v0, off, off offset:4
	s_mov_b32 s3, exec_lo
                                        ; implicit-def: $sgpr2
	s_wait_loadcnt 0x0
	v_cmpx_ne_u32_e64 v0, v8
	s_xor_b32 s3, exec_lo, s3
; %bb.357:                              ;   in Loop: Header=BB1_221 Depth=2
	v_cmp_gt_u32_e64 s2, v0, v8
; %bb.358:                              ;   in Loop: Header=BB1_221 Depth=2
	s_and_not1_saveexec_b32 s3, s3
	s_cbranch_execz .LBB1_360
; %bb.359:                              ;   in Loop: Header=BB1_221 Depth=2
	scratch_load_b32 v0, off, off offset:8
	s_and_not1_b32 s2, s2, exec_lo
	s_wait_loadcnt 0x0
	v_cmp_ge_u32_e32 vcc_lo, v0, v2
	s_and_b32 s4, vcc_lo, exec_lo
	s_delay_alu instid0(SALU_CYCLE_1)
	s_or_b32 s2, s2, s4
.LBB1_360:                              ;   in Loop: Header=BB1_221 Depth=2
	s_wait_xcnt 0x0
	s_or_b32 exec_lo, exec_lo, s3
	s_delay_alu instid0(SALU_CYCLE_1) | instskip(SKIP_1) | instid1(SALU_CYCLE_1)
	s_and_not1_b32 s0, s0, exec_lo
	s_and_b32 s2, s2, exec_lo
	s_or_b32 s0, s0, s2
	s_or_b32 exec_lo, exec_lo, s1
	s_and_saveexec_b32 s1, s0
	s_cbranch_execnz .LBB1_285
	s_branch .LBB1_286
.LBB1_361:                              ;   in Loop: Header=BB1_221 Depth=2
	v_cmp_gt_u32_e64 s0, v16, v17
                                        ; implicit-def: $vgpr0_vgpr1_vgpr2_vgpr3
                                        ; implicit-def: $vgpr6_vgpr7_vgpr8_vgpr9
	s_and_not1_saveexec_b32 s1, s1
	s_cbranch_execz .LBB1_288
.LBB1_362:                              ;   in Loop: Header=BB1_221 Depth=2
	scratch_load_b32 v0, off, off offset:4
	s_mov_b32 s3, exec_lo
                                        ; implicit-def: $sgpr2
	s_wait_loadcnt 0x0
	v_cmpx_ne_u32_e64 v0, v9
	s_xor_b32 s3, exec_lo, s3
; %bb.363:                              ;   in Loop: Header=BB1_221 Depth=2
	v_cmp_gt_u32_e64 s2, v0, v9
                                        ; implicit-def: $vgpr0_vgpr1_vgpr2_vgpr3
; %bb.364:                              ;   in Loop: Header=BB1_221 Depth=2
	s_and_not1_saveexec_b32 s3, s3
	s_cbranch_execz .LBB1_366
; %bb.365:                              ;   in Loop: Header=BB1_221 Depth=2
	scratch_load_b32 v0, off, off offset:8
	s_and_not1_b32 s2, s2, exec_lo
	s_wait_loadcnt 0x0
	v_cmp_ge_u32_e32 vcc_lo, v0, v3
	s_and_b32 s4, vcc_lo, exec_lo
	s_delay_alu instid0(SALU_CYCLE_1)
	s_or_b32 s2, s2, s4
.LBB1_366:                              ;   in Loop: Header=BB1_221 Depth=2
	s_wait_xcnt 0x0
	s_or_b32 exec_lo, exec_lo, s3
	s_delay_alu instid0(SALU_CYCLE_1) | instskip(SKIP_1) | instid1(SALU_CYCLE_1)
	s_and_not1_b32 s0, s0, exec_lo
	s_and_b32 s2, s2, exec_lo
	s_or_b32 s0, s0, s2
	s_or_b32 exec_lo, exec_lo, s1
	s_and_saveexec_b32 s1, s0
	s_cbranch_execnz .LBB1_289
	s_branch .LBB1_290
.LBB1_367:                              ;   in Loop: Header=BB1_221 Depth=2
	v_cmp_gt_u32_e64 s0, v0, v16
	s_and_not1_saveexec_b32 s1, s1
	s_cbranch_execz .LBB1_292
.LBB1_368:                              ;   in Loop: Header=BB1_221 Depth=2
	s_clause 0x1
	scratch_load_b32 v1, off, off offset:20
	scratch_load_b32 v2, off, off offset:4
	s_mov_b32 s3, exec_lo
                                        ; implicit-def: $sgpr2
	s_wait_loadcnt 0x0
	v_cmpx_ne_u32_e64 v1, v2
	s_xor_b32 s3, exec_lo, s3
; %bb.369:                              ;   in Loop: Header=BB1_221 Depth=2
	v_cmp_gt_u32_e64 s2, v1, v2
; %bb.370:                              ;   in Loop: Header=BB1_221 Depth=2
	s_and_not1_saveexec_b32 s3, s3
	s_cbranch_execz .LBB1_372
; %bb.371:                              ;   in Loop: Header=BB1_221 Depth=2
	s_clause 0x1
	scratch_load_b32 v1, off, off offset:8
	scratch_load_b32 v2, off, off offset:24
	s_and_not1_b32 s2, s2, exec_lo
	s_wait_loadcnt 0x0
	v_cmp_ge_u32_e32 vcc_lo, v2, v1
	s_and_b32 s4, vcc_lo, exec_lo
	s_delay_alu instid0(SALU_CYCLE_1)
	s_or_b32 s2, s2, s4
.LBB1_372:                              ;   in Loop: Header=BB1_221 Depth=2
	s_wait_xcnt 0x0
	s_or_b32 exec_lo, exec_lo, s3
	s_delay_alu instid0(SALU_CYCLE_1) | instskip(SKIP_1) | instid1(SALU_CYCLE_1)
	s_and_not1_b32 s0, s0, exec_lo
	s_and_b32 s2, s2, exec_lo
	s_or_b32 s0, s0, s2
	s_or_b32 exec_lo, exec_lo, s1
	s_and_saveexec_b32 s1, s0
	s_cbranch_execnz .LBB1_293
	s_branch .LBB1_294
.LBB1_373:                              ;   in Loop: Header=BB1_221 Depth=2
	v_cmp_gt_u32_e64 s0, v0, v1
	s_and_not1_saveexec_b32 s1, s1
	s_cbranch_execz .LBB1_296
.LBB1_374:                              ;   in Loop: Header=BB1_221 Depth=2
	s_clause 0x1
	scratch_load_b32 v1, off, off offset:20
	scratch_load_b32 v2, off, off offset:36
	s_mov_b32 s3, exec_lo
                                        ; implicit-def: $sgpr2
	s_wait_loadcnt 0x0
	v_cmpx_ne_u32_e64 v1, v2
	s_xor_b32 s3, exec_lo, s3
; %bb.375:                              ;   in Loop: Header=BB1_221 Depth=2
	v_cmp_gt_u32_e64 s2, v1, v2
; %bb.376:                              ;   in Loop: Header=BB1_221 Depth=2
	s_and_not1_saveexec_b32 s3, s3
	s_cbranch_execz .LBB1_378
; %bb.377:                              ;   in Loop: Header=BB1_221 Depth=2
	s_clause 0x1
	scratch_load_b32 v1, off, off offset:40
	scratch_load_b32 v2, off, off offset:24
	s_and_not1_b32 s2, s2, exec_lo
	s_wait_loadcnt 0x0
	v_cmp_ge_u32_e32 vcc_lo, v2, v1
	s_and_b32 s4, vcc_lo, exec_lo
	s_delay_alu instid0(SALU_CYCLE_1)
	s_or_b32 s2, s2, s4
.LBB1_378:                              ;   in Loop: Header=BB1_221 Depth=2
	s_wait_xcnt 0x0
	s_or_b32 exec_lo, exec_lo, s3
	s_delay_alu instid0(SALU_CYCLE_1) | instskip(SKIP_1) | instid1(SALU_CYCLE_1)
	s_and_not1_b32 s0, s0, exec_lo
	s_and_b32 s2, s2, exec_lo
	s_or_b32 s0, s0, s2
	s_or_b32 exec_lo, exec_lo, s1
	s_and_saveexec_b32 s1, s0
	s_cbranch_execnz .LBB1_297
	s_branch .LBB1_298
.LBB1_379:                              ;   in Loop: Header=BB1_221 Depth=2
	v_cmp_gt_u32_e64 s0, v0, v1
	s_and_not1_saveexec_b32 s1, s1
	s_cbranch_execz .LBB1_300
.LBB1_380:                              ;   in Loop: Header=BB1_221 Depth=2
	s_clause 0x1
	scratch_load_b32 v0, off, off offset:20
	scratch_load_b32 v1, off, off offset:52
	s_mov_b32 s3, exec_lo
                                        ; implicit-def: $sgpr2
	s_wait_loadcnt 0x0
	v_cmpx_ne_u32_e64 v0, v1
	s_xor_b32 s3, exec_lo, s3
; %bb.381:                              ;   in Loop: Header=BB1_221 Depth=2
	v_cmp_gt_u32_e64 s2, v0, v1
; %bb.382:                              ;   in Loop: Header=BB1_221 Depth=2
	s_and_not1_saveexec_b32 s3, s3
	s_cbranch_execz .LBB1_384
; %bb.383:                              ;   in Loop: Header=BB1_221 Depth=2
	s_clause 0x1
	scratch_load_b32 v0, off, off offset:56
	scratch_load_b32 v1, off, off offset:24
	s_and_not1_b32 s2, s2, exec_lo
	s_wait_loadcnt 0x0
	v_cmp_ge_u32_e32 vcc_lo, v1, v0
	s_and_b32 s4, vcc_lo, exec_lo
	s_delay_alu instid0(SALU_CYCLE_1)
	s_or_b32 s2, s2, s4
.LBB1_384:                              ;   in Loop: Header=BB1_221 Depth=2
	s_wait_xcnt 0x0
	s_or_b32 exec_lo, exec_lo, s3
	s_delay_alu instid0(SALU_CYCLE_1) | instskip(SKIP_1) | instid1(SALU_CYCLE_1)
	s_and_not1_b32 s0, s0, exec_lo
	s_and_b32 s2, s2, exec_lo
	s_or_b32 s0, s0, s2
	s_or_b32 exec_lo, exec_lo, s1
	s_and_saveexec_b32 s1, s0
	s_cbranch_execnz .LBB1_301
	s_branch .LBB1_302
.LBB1_385:                              ;   in Loop: Header=BB1_221 Depth=2
	v_cmp_gt_u32_e64 s0, v1, v0
	s_and_not1_saveexec_b32 s1, s1
	s_cbranch_execz .LBB1_304
.LBB1_386:                              ;   in Loop: Header=BB1_221 Depth=2
	s_clause 0x1
	scratch_load_b32 v0, off, off offset:36
	scratch_load_b32 v2, off, off offset:4
	s_mov_b32 s3, exec_lo
                                        ; implicit-def: $sgpr2
	s_wait_loadcnt 0x0
	v_cmpx_ne_u32_e64 v0, v2
	s_xor_b32 s3, exec_lo, s3
; %bb.387:                              ;   in Loop: Header=BB1_221 Depth=2
	v_cmp_gt_u32_e64 s2, v0, v2
; %bb.388:                              ;   in Loop: Header=BB1_221 Depth=2
	s_and_not1_saveexec_b32 s3, s3
	s_cbranch_execz .LBB1_390
; %bb.389:                              ;   in Loop: Header=BB1_221 Depth=2
	s_clause 0x1
	scratch_load_b32 v0, off, off offset:8
	scratch_load_b32 v2, off, off offset:40
	s_and_not1_b32 s2, s2, exec_lo
	s_wait_loadcnt 0x0
	v_cmp_ge_u32_e32 vcc_lo, v2, v0
	s_and_b32 s4, vcc_lo, exec_lo
	s_delay_alu instid0(SALU_CYCLE_1)
	s_or_b32 s2, s2, s4
.LBB1_390:                              ;   in Loop: Header=BB1_221 Depth=2
	s_wait_xcnt 0x0
	s_or_b32 exec_lo, exec_lo, s3
	s_delay_alu instid0(SALU_CYCLE_1) | instskip(SKIP_1) | instid1(SALU_CYCLE_1)
	s_and_not1_b32 s0, s0, exec_lo
	s_and_b32 s2, s2, exec_lo
	s_or_b32 s0, s0, s2
	s_or_b32 exec_lo, exec_lo, s1
	s_and_saveexec_b32 s1, s0
	s_cbranch_execnz .LBB1_305
	s_branch .LBB1_306
.LBB1_391:                              ;   in Loop: Header=BB1_221 Depth=2
	v_cmp_gt_u32_e64 s0, v1, v0
	s_and_not1_saveexec_b32 s1, s1
	s_cbranch_execz .LBB1_308
.LBB1_392:                              ;   in Loop: Header=BB1_221 Depth=2
	s_clause 0x1
	scratch_load_b32 v0, off, off offset:36
	scratch_load_b32 v2, off, off offset:20
	s_mov_b32 s3, exec_lo
                                        ; implicit-def: $sgpr2
	s_wait_loadcnt 0x0
	v_cmpx_ne_u32_e64 v0, v2
	s_xor_b32 s3, exec_lo, s3
; %bb.393:                              ;   in Loop: Header=BB1_221 Depth=2
	v_cmp_gt_u32_e64 s2, v0, v2
; %bb.394:                              ;   in Loop: Header=BB1_221 Depth=2
	s_and_not1_saveexec_b32 s3, s3
	s_cbranch_execz .LBB1_396
; %bb.395:                              ;   in Loop: Header=BB1_221 Depth=2
	s_clause 0x1
	scratch_load_b32 v0, off, off offset:24
	scratch_load_b32 v2, off, off offset:40
	s_and_not1_b32 s2, s2, exec_lo
	s_wait_loadcnt 0x0
	v_cmp_ge_u32_e32 vcc_lo, v2, v0
	s_and_b32 s4, vcc_lo, exec_lo
	s_delay_alu instid0(SALU_CYCLE_1)
	s_or_b32 s2, s2, s4
.LBB1_396:                              ;   in Loop: Header=BB1_221 Depth=2
	s_wait_xcnt 0x0
	s_or_b32 exec_lo, exec_lo, s3
	s_delay_alu instid0(SALU_CYCLE_1) | instskip(SKIP_1) | instid1(SALU_CYCLE_1)
	s_and_not1_b32 s0, s0, exec_lo
	s_and_b32 s2, s2, exec_lo
	s_or_b32 s0, s0, s2
	s_or_b32 exec_lo, exec_lo, s1
	s_and_saveexec_b32 s1, s0
	s_cbranch_execnz .LBB1_309
	s_branch .LBB1_310
.LBB1_397:                              ;   in Loop: Header=BB1_221 Depth=2
	v_cmp_gt_u32_e64 s0, v1, v0
	s_and_not1_saveexec_b32 s1, s1
	s_cbranch_execz .LBB1_312
.LBB1_398:                              ;   in Loop: Header=BB1_221 Depth=2
	s_clause 0x1
	scratch_load_b32 v1, off, off offset:36
	scratch_load_b32 v2, off, off offset:52
	s_mov_b32 s3, exec_lo
                                        ; implicit-def: $sgpr2
	s_wait_loadcnt 0x0
	v_cmpx_ne_u32_e64 v1, v2
	s_xor_b32 s3, exec_lo, s3
; %bb.399:                              ;   in Loop: Header=BB1_221 Depth=2
	v_cmp_gt_u32_e64 s2, v1, v2
; %bb.400:                              ;   in Loop: Header=BB1_221 Depth=2
	s_and_not1_saveexec_b32 s3, s3
	s_cbranch_execz .LBB1_402
; %bb.401:                              ;   in Loop: Header=BB1_221 Depth=2
	s_clause 0x1
	scratch_load_b32 v1, off, off offset:56
	scratch_load_b32 v2, off, off offset:40
	s_and_not1_b32 s2, s2, exec_lo
	s_wait_loadcnt 0x0
	v_cmp_ge_u32_e32 vcc_lo, v2, v1
	s_and_b32 s4, vcc_lo, exec_lo
	s_delay_alu instid0(SALU_CYCLE_1)
	s_or_b32 s2, s2, s4
.LBB1_402:                              ;   in Loop: Header=BB1_221 Depth=2
	s_wait_xcnt 0x0
	s_or_b32 exec_lo, exec_lo, s3
	s_delay_alu instid0(SALU_CYCLE_1) | instskip(SKIP_1) | instid1(SALU_CYCLE_1)
	s_and_not1_b32 s0, s0, exec_lo
	s_and_b32 s2, s2, exec_lo
	s_or_b32 s0, s0, s2
	s_or_b32 exec_lo, exec_lo, s1
	s_and_saveexec_b32 s1, s0
	s_cbranch_execnz .LBB1_313
	s_branch .LBB1_314
.LBB1_403:                              ;   in Loop: Header=BB1_221 Depth=2
	v_cmp_gt_u32_e64 s0, v0, v1
	s_and_not1_saveexec_b32 s1, s1
	s_cbranch_execz .LBB1_316
.LBB1_404:                              ;   in Loop: Header=BB1_221 Depth=2
	s_clause 0x1
	scratch_load_b32 v1, off, off offset:52
	scratch_load_b32 v2, off, off offset:4
	s_mov_b32 s3, exec_lo
                                        ; implicit-def: $sgpr2
	s_wait_loadcnt 0x0
	v_cmpx_ne_u32_e64 v1, v2
	s_xor_b32 s3, exec_lo, s3
; %bb.405:                              ;   in Loop: Header=BB1_221 Depth=2
	v_cmp_gt_u32_e64 s2, v1, v2
; %bb.406:                              ;   in Loop: Header=BB1_221 Depth=2
	s_and_not1_saveexec_b32 s3, s3
	s_cbranch_execz .LBB1_408
; %bb.407:                              ;   in Loop: Header=BB1_221 Depth=2
	s_clause 0x1
	scratch_load_b32 v1, off, off offset:8
	scratch_load_b32 v2, off, off offset:56
	s_and_not1_b32 s2, s2, exec_lo
	s_wait_loadcnt 0x0
	v_cmp_ge_u32_e32 vcc_lo, v2, v1
	s_and_b32 s4, vcc_lo, exec_lo
	s_delay_alu instid0(SALU_CYCLE_1)
	s_or_b32 s2, s2, s4
.LBB1_408:                              ;   in Loop: Header=BB1_221 Depth=2
	s_wait_xcnt 0x0
	s_or_b32 exec_lo, exec_lo, s3
	s_delay_alu instid0(SALU_CYCLE_1) | instskip(SKIP_1) | instid1(SALU_CYCLE_1)
	s_and_not1_b32 s0, s0, exec_lo
	s_and_b32 s2, s2, exec_lo
	s_or_b32 s0, s0, s2
	s_or_b32 exec_lo, exec_lo, s1
	s_and_saveexec_b32 s1, s0
	s_cbranch_execnz .LBB1_317
	s_branch .LBB1_318
.LBB1_409:                              ;   in Loop: Header=BB1_221 Depth=2
	v_cmp_gt_u32_e64 s0, v0, v1
	s_and_not1_saveexec_b32 s1, s1
	s_cbranch_execz .LBB1_320
.LBB1_410:                              ;   in Loop: Header=BB1_221 Depth=2
	s_clause 0x1
	scratch_load_b32 v1, off, off offset:52
	scratch_load_b32 v2, off, off offset:20
	s_mov_b32 s3, exec_lo
                                        ; implicit-def: $sgpr2
	s_wait_loadcnt 0x0
	v_cmpx_ne_u32_e64 v1, v2
	s_xor_b32 s3, exec_lo, s3
; %bb.411:                              ;   in Loop: Header=BB1_221 Depth=2
	v_cmp_gt_u32_e64 s2, v1, v2
; %bb.412:                              ;   in Loop: Header=BB1_221 Depth=2
	s_and_not1_saveexec_b32 s3, s3
	s_cbranch_execz .LBB1_414
; %bb.413:                              ;   in Loop: Header=BB1_221 Depth=2
	s_clause 0x1
	scratch_load_b32 v1, off, off offset:24
	scratch_load_b32 v2, off, off offset:56
	s_and_not1_b32 s2, s2, exec_lo
	s_wait_loadcnt 0x0
	v_cmp_ge_u32_e32 vcc_lo, v2, v1
	s_and_b32 s4, vcc_lo, exec_lo
	s_delay_alu instid0(SALU_CYCLE_1)
	s_or_b32 s2, s2, s4
.LBB1_414:                              ;   in Loop: Header=BB1_221 Depth=2
	s_wait_xcnt 0x0
	s_or_b32 exec_lo, exec_lo, s3
	s_delay_alu instid0(SALU_CYCLE_1) | instskip(SKIP_1) | instid1(SALU_CYCLE_1)
	s_and_not1_b32 s0, s0, exec_lo
	s_and_b32 s2, s2, exec_lo
	s_or_b32 s0, s0, s2
	s_or_b32 exec_lo, exec_lo, s1
	s_and_saveexec_b32 s1, s0
	s_cbranch_execnz .LBB1_321
	s_branch .LBB1_322
.LBB1_415:                              ;   in Loop: Header=BB1_221 Depth=2
	v_cmp_gt_u32_e64 s0, v0, v1
	s_and_not1_saveexec_b32 s1, s1
	s_cbranch_execz .LBB1_324
.LBB1_416:                              ;   in Loop: Header=BB1_221 Depth=2
	s_clause 0x1
	scratch_load_b32 v0, off, off offset:52
	scratch_load_b32 v1, off, off offset:36
	s_mov_b32 s3, exec_lo
                                        ; implicit-def: $sgpr2
	s_wait_loadcnt 0x0
	v_cmpx_ne_u32_e64 v0, v1
	s_xor_b32 s3, exec_lo, s3
; %bb.417:                              ;   in Loop: Header=BB1_221 Depth=2
	v_cmp_gt_u32_e64 s2, v0, v1
; %bb.418:                              ;   in Loop: Header=BB1_221 Depth=2
	s_and_not1_saveexec_b32 s3, s3
	s_cbranch_execz .LBB1_420
; %bb.419:                              ;   in Loop: Header=BB1_221 Depth=2
	s_clause 0x1
	scratch_load_b32 v0, off, off offset:40
	scratch_load_b32 v1, off, off offset:56
	s_and_not1_b32 s2, s2, exec_lo
	s_wait_loadcnt 0x0
	v_cmp_ge_u32_e32 vcc_lo, v1, v0
	s_and_b32 s4, vcc_lo, exec_lo
	s_delay_alu instid0(SALU_CYCLE_1)
	s_or_b32 s2, s2, s4
.LBB1_420:                              ;   in Loop: Header=BB1_221 Depth=2
	s_wait_xcnt 0x0
	s_or_b32 exec_lo, exec_lo, s3
	s_delay_alu instid0(SALU_CYCLE_1) | instskip(SKIP_1) | instid1(SALU_CYCLE_1)
	s_and_not1_b32 s0, s0, exec_lo
	s_and_b32 s2, s2, exec_lo
	s_or_b32 s0, s0, s2
	s_or_b32 exec_lo, exec_lo, s1
	s_and_saveexec_b32 s1, s0
	s_cbranch_execnz .LBB1_325
	s_branch .LBB1_326
.LBB1_421:                              ;   in Loop: Header=BB1_221 Depth=2
	global_load_b64 v[0:1], v[0:1], off
	s_wait_xcnt 0x0
	s_and_saveexec_b32 s6, s0
	s_cbranch_execz .LBB1_425
; %bb.422:                              ;   in Loop: Header=BB1_221 Depth=2
	s_clause 0x2
	global_load_b64 v[2:3], v45, s[2:3] offset:40
	global_load_b64 v[10:11], v45, s[2:3] offset:24 scope:SCOPE_SYS
	global_load_b64 v[6:7], v45, s[2:3]
	s_wait_loadcnt 0x2
	v_readfirstlane_b32 s10, v2
	v_readfirstlane_b32 s11, v3
	s_add_nc_u64 s[0:1], s[10:11], 1
	s_delay_alu instid0(SALU_CYCLE_1) | instskip(NEXT) | instid1(SALU_CYCLE_1)
	s_add_nc_u64 s[4:5], s[0:1], s[4:5]
	s_cmp_eq_u64 s[4:5], 0
	s_cselect_b32 s1, s1, s5
	s_cselect_b32 s0, s0, s4
	s_delay_alu instid0(SALU_CYCLE_1) | instskip(SKIP_1) | instid1(SALU_CYCLE_1)
	v_dual_mov_b32 v9, s1 :: v_dual_mov_b32 v8, s0
	s_and_b64 s[4:5], s[0:1], s[10:11]
	s_mul_u64 s[4:5], s[4:5], 24
	s_wait_loadcnt 0x0
	v_add_nc_u64_e32 v[2:3], s[4:5], v[6:7]
	global_store_b64 v[2:3], v[10:11], off
	global_wb scope:SCOPE_SYS
	s_wait_storecnt 0x0
	s_wait_xcnt 0x0
	global_atomic_cmpswap_b64 v[8:9], v45, v[8:11], s[2:3] offset:24 th:TH_ATOMIC_RETURN scope:SCOPE_SYS
	s_wait_loadcnt 0x0
	v_cmp_ne_u64_e32 vcc_lo, v[8:9], v[10:11]
	s_and_b32 exec_lo, exec_lo, vcc_lo
	s_cbranch_execz .LBB1_425
; %bb.423:                              ;   in Loop: Header=BB1_221 Depth=2
	s_mov_b32 s4, 0
.LBB1_424:                              ;   Parent Loop BB1_13 Depth=1
                                        ;     Parent Loop BB1_221 Depth=2
                                        ; =>    This Inner Loop Header: Depth=3
	v_dual_mov_b32 v6, s0 :: v_dual_mov_b32 v7, s1
	s_sleep 1
	global_store_b64 v[2:3], v[8:9], off
	global_wb scope:SCOPE_SYS
	s_wait_storecnt 0x0
	s_wait_xcnt 0x0
	global_atomic_cmpswap_b64 v[6:7], v45, v[6:9], s[2:3] offset:24 th:TH_ATOMIC_RETURN scope:SCOPE_SYS
	s_wait_loadcnt 0x0
	v_cmp_eq_u64_e32 vcc_lo, v[6:7], v[8:9]
	v_mov_b64_e32 v[8:9], v[6:7]
	s_or_b32 s4, vcc_lo, s4
	s_delay_alu instid0(SALU_CYCLE_1)
	s_and_not1_b32 exec_lo, exec_lo, s4
	s_cbranch_execnz .LBB1_424
.LBB1_425:                              ;   in Loop: Header=BB1_221 Depth=2
	s_or_b32 exec_lo, exec_lo, s6
	s_delay_alu instid0(SALU_CYCLE_1)
	s_and_b32 vcc_lo, exec_lo, s63
	s_cbranch_vccz .LBB1_504
; %bb.426:                              ;   in Loop: Header=BB1_221 Depth=2
	s_wait_loadcnt 0x0
	v_dual_mov_b32 v7, v1 :: v_dual_bitop2_b32 v6, -3, v0 bitop3:0x40
	s_mov_b64 s[4:5], 53
	s_mov_b64 s[6:7], s[48:49]
	s_branch .LBB1_428
.LBB1_427:                              ;   in Loop: Header=BB1_428 Depth=3
	s_or_b32 exec_lo, exec_lo, s14
	s_sub_nc_u64 s[4:5], s[4:5], s[10:11]
	s_add_nc_u64 s[6:7], s[6:7], s[10:11]
	s_cmp_lg_u64 s[4:5], 0
	s_cbranch_scc0 .LBB1_503
.LBB1_428:                              ;   Parent Loop BB1_13 Depth=1
                                        ;     Parent Loop BB1_221 Depth=2
                                        ; =>    This Loop Header: Depth=3
                                        ;         Child Loop BB1_431 Depth 4
                                        ;         Child Loop BB1_438 Depth 4
	;; [unrolled: 1-line block ×11, first 2 shown]
	v_min_u64 v[2:3], s[4:5], 56
	v_cmp_gt_u64_e64 s0, s[4:5], 7
	s_and_b32 vcc_lo, exec_lo, s0
	v_readfirstlane_b32 s10, v2
	v_readfirstlane_b32 s11, v3
	s_cbranch_vccnz .LBB1_433
; %bb.429:                              ;   in Loop: Header=BB1_428 Depth=3
	s_wait_loadcnt 0x0
	v_mov_b64_e32 v[8:9], 0
	s_cmp_eq_u64 s[4:5], 0
	s_cbranch_scc1 .LBB1_432
; %bb.430:                              ;   in Loop: Header=BB1_428 Depth=3
	s_mov_b64 s[0:1], 0
	s_mov_b64 s[12:13], 0
.LBB1_431:                              ;   Parent Loop BB1_13 Depth=1
                                        ;     Parent Loop BB1_221 Depth=2
                                        ;       Parent Loop BB1_428 Depth=3
                                        ; =>      This Inner Loop Header: Depth=4
	s_wait_xcnt 0x0
	s_add_nc_u64 s[14:15], s[6:7], s[12:13]
	s_add_nc_u64 s[12:13], s[12:13], 1
	global_load_u8 v2, v45, s[14:15]
	s_cmp_lg_u32 s10, s12
	s_wait_loadcnt 0x0
	v_and_b32_e32 v44, 0xffff, v2
	s_delay_alu instid0(VALU_DEP_1) | instskip(SKIP_1) | instid1(VALU_DEP_1)
	v_lshlrev_b64_e32 v[2:3], s0, v[44:45]
	s_add_nc_u64 s[0:1], s[0:1], 8
	v_or_b32_e32 v8, v2, v8
	s_delay_alu instid0(VALU_DEP_2)
	v_or_b32_e32 v9, v3, v9
	s_cbranch_scc1 .LBB1_431
.LBB1_432:                              ;   in Loop: Header=BB1_428 Depth=3
	s_mov_b64 s[0:1], s[6:7]
	s_mov_b32 s20, 0
	s_cbranch_execz .LBB1_434
	s_branch .LBB1_435
.LBB1_433:                              ;   in Loop: Header=BB1_428 Depth=3
	s_add_nc_u64 s[0:1], s[6:7], 8
	s_mov_b32 s20, 0
.LBB1_434:                              ;   in Loop: Header=BB1_428 Depth=3
	s_wait_loadcnt 0x0
	global_load_b64 v[8:9], v45, s[6:7]
	s_add_co_i32 s20, s10, -8
.LBB1_435:                              ;   in Loop: Header=BB1_428 Depth=3
	s_delay_alu instid0(SALU_CYCLE_1)
	s_cmp_gt_u32 s20, 7
	s_cbranch_scc1 .LBB1_440
; %bb.436:                              ;   in Loop: Header=BB1_428 Depth=3
	v_mov_b64_e32 v[10:11], 0
	s_cmp_eq_u32 s20, 0
	s_cbranch_scc1 .LBB1_439
; %bb.437:                              ;   in Loop: Header=BB1_428 Depth=3
	s_mov_b64 s[12:13], 0
	s_wait_xcnt 0x0
	s_mov_b64 s[14:15], 0
.LBB1_438:                              ;   Parent Loop BB1_13 Depth=1
                                        ;     Parent Loop BB1_221 Depth=2
                                        ;       Parent Loop BB1_428 Depth=3
                                        ; =>      This Inner Loop Header: Depth=4
	s_wait_xcnt 0x0
	s_add_nc_u64 s[22:23], s[0:1], s[14:15]
	s_add_nc_u64 s[14:15], s[14:15], 1
	global_load_u8 v2, v45, s[22:23]
	s_cmp_lg_u32 s20, s14
	s_wait_loadcnt 0x0
	v_and_b32_e32 v44, 0xffff, v2
	s_delay_alu instid0(VALU_DEP_1) | instskip(SKIP_1) | instid1(VALU_DEP_1)
	v_lshlrev_b64_e32 v[2:3], s12, v[44:45]
	s_add_nc_u64 s[12:13], s[12:13], 8
	v_or_b32_e32 v10, v2, v10
	s_delay_alu instid0(VALU_DEP_2)
	v_or_b32_e32 v11, v3, v11
	s_cbranch_scc1 .LBB1_438
.LBB1_439:                              ;   in Loop: Header=BB1_428 Depth=3
	s_wait_xcnt 0x0
	s_mov_b64 s[12:13], s[0:1]
	s_mov_b32 s21, 0
	s_cbranch_execz .LBB1_441
	s_branch .LBB1_442
.LBB1_440:                              ;   in Loop: Header=BB1_428 Depth=3
	s_add_nc_u64 s[12:13], s[0:1], 8
	s_wait_xcnt 0x0
                                        ; implicit-def: $vgpr10_vgpr11
	s_mov_b32 s21, 0
.LBB1_441:                              ;   in Loop: Header=BB1_428 Depth=3
	global_load_b64 v[10:11], v45, s[0:1]
	s_add_co_i32 s21, s20, -8
.LBB1_442:                              ;   in Loop: Header=BB1_428 Depth=3
	s_delay_alu instid0(SALU_CYCLE_1)
	s_cmp_gt_u32 s21, 7
	s_cbranch_scc1 .LBB1_447
; %bb.443:                              ;   in Loop: Header=BB1_428 Depth=3
	v_mov_b64_e32 v[12:13], 0
	s_cmp_eq_u32 s21, 0
	s_cbranch_scc1 .LBB1_446
; %bb.444:                              ;   in Loop: Header=BB1_428 Depth=3
	s_wait_xcnt 0x0
	s_mov_b64 s[0:1], 0
	s_mov_b64 s[14:15], 0
.LBB1_445:                              ;   Parent Loop BB1_13 Depth=1
                                        ;     Parent Loop BB1_221 Depth=2
                                        ;       Parent Loop BB1_428 Depth=3
                                        ; =>      This Inner Loop Header: Depth=4
	s_wait_xcnt 0x0
	s_add_nc_u64 s[22:23], s[12:13], s[14:15]
	s_add_nc_u64 s[14:15], s[14:15], 1
	global_load_u8 v2, v45, s[22:23]
	s_cmp_lg_u32 s21, s14
	s_wait_loadcnt 0x0
	v_and_b32_e32 v44, 0xffff, v2
	s_delay_alu instid0(VALU_DEP_1) | instskip(SKIP_1) | instid1(VALU_DEP_1)
	v_lshlrev_b64_e32 v[2:3], s0, v[44:45]
	s_add_nc_u64 s[0:1], s[0:1], 8
	v_or_b32_e32 v12, v2, v12
	s_delay_alu instid0(VALU_DEP_2)
	v_or_b32_e32 v13, v3, v13
	s_cbranch_scc1 .LBB1_445
.LBB1_446:                              ;   in Loop: Header=BB1_428 Depth=3
	s_wait_xcnt 0x0
	s_mov_b64 s[0:1], s[12:13]
	s_mov_b32 s20, 0
	s_cbranch_execz .LBB1_448
	s_branch .LBB1_449
.LBB1_447:                              ;   in Loop: Header=BB1_428 Depth=3
	s_wait_xcnt 0x0
	s_add_nc_u64 s[0:1], s[12:13], 8
	s_mov_b32 s20, 0
.LBB1_448:                              ;   in Loop: Header=BB1_428 Depth=3
	global_load_b64 v[12:13], v45, s[12:13]
	s_add_co_i32 s20, s21, -8
.LBB1_449:                              ;   in Loop: Header=BB1_428 Depth=3
	s_delay_alu instid0(SALU_CYCLE_1)
	s_cmp_gt_u32 s20, 7
	s_cbranch_scc1 .LBB1_454
; %bb.450:                              ;   in Loop: Header=BB1_428 Depth=3
	v_mov_b64_e32 v[14:15], 0
	s_cmp_eq_u32 s20, 0
	s_cbranch_scc1 .LBB1_453
; %bb.451:                              ;   in Loop: Header=BB1_428 Depth=3
	s_wait_xcnt 0x0
	s_mov_b64 s[12:13], 0
	s_mov_b64 s[14:15], 0
.LBB1_452:                              ;   Parent Loop BB1_13 Depth=1
                                        ;     Parent Loop BB1_221 Depth=2
                                        ;       Parent Loop BB1_428 Depth=3
                                        ; =>      This Inner Loop Header: Depth=4
	s_wait_xcnt 0x0
	s_add_nc_u64 s[22:23], s[0:1], s[14:15]
	s_add_nc_u64 s[14:15], s[14:15], 1
	global_load_u8 v2, v45, s[22:23]
	s_cmp_lg_u32 s20, s14
	s_wait_loadcnt 0x0
	v_and_b32_e32 v44, 0xffff, v2
	s_delay_alu instid0(VALU_DEP_1) | instskip(SKIP_1) | instid1(VALU_DEP_1)
	v_lshlrev_b64_e32 v[2:3], s12, v[44:45]
	s_add_nc_u64 s[12:13], s[12:13], 8
	v_or_b32_e32 v14, v2, v14
	s_delay_alu instid0(VALU_DEP_2)
	v_or_b32_e32 v15, v3, v15
	s_cbranch_scc1 .LBB1_452
.LBB1_453:                              ;   in Loop: Header=BB1_428 Depth=3
	s_wait_xcnt 0x0
	s_mov_b64 s[12:13], s[0:1]
	s_mov_b32 s21, 0
	s_cbranch_execz .LBB1_455
	s_branch .LBB1_456
.LBB1_454:                              ;   in Loop: Header=BB1_428 Depth=3
	s_wait_xcnt 0x0
	s_add_nc_u64 s[12:13], s[0:1], 8
                                        ; implicit-def: $vgpr14_vgpr15
	s_mov_b32 s21, 0
.LBB1_455:                              ;   in Loop: Header=BB1_428 Depth=3
	global_load_b64 v[14:15], v45, s[0:1]
	s_add_co_i32 s21, s20, -8
.LBB1_456:                              ;   in Loop: Header=BB1_428 Depth=3
	s_delay_alu instid0(SALU_CYCLE_1)
	s_cmp_gt_u32 s21, 7
	s_cbranch_scc1 .LBB1_461
; %bb.457:                              ;   in Loop: Header=BB1_428 Depth=3
	v_mov_b64_e32 v[16:17], 0
	s_cmp_eq_u32 s21, 0
	s_cbranch_scc1 .LBB1_460
; %bb.458:                              ;   in Loop: Header=BB1_428 Depth=3
	s_wait_xcnt 0x0
	s_mov_b64 s[0:1], 0
	s_mov_b64 s[14:15], 0
.LBB1_459:                              ;   Parent Loop BB1_13 Depth=1
                                        ;     Parent Loop BB1_221 Depth=2
                                        ;       Parent Loop BB1_428 Depth=3
                                        ; =>      This Inner Loop Header: Depth=4
	s_wait_xcnt 0x0
	s_add_nc_u64 s[22:23], s[12:13], s[14:15]
	s_add_nc_u64 s[14:15], s[14:15], 1
	global_load_u8 v2, v45, s[22:23]
	s_cmp_lg_u32 s21, s14
	s_wait_loadcnt 0x0
	v_and_b32_e32 v44, 0xffff, v2
	s_delay_alu instid0(VALU_DEP_1) | instskip(SKIP_1) | instid1(VALU_DEP_1)
	v_lshlrev_b64_e32 v[2:3], s0, v[44:45]
	s_add_nc_u64 s[0:1], s[0:1], 8
	v_or_b32_e32 v16, v2, v16
	s_delay_alu instid0(VALU_DEP_2)
	v_or_b32_e32 v17, v3, v17
	s_cbranch_scc1 .LBB1_459
.LBB1_460:                              ;   in Loop: Header=BB1_428 Depth=3
	s_wait_xcnt 0x0
	s_mov_b64 s[0:1], s[12:13]
	s_mov_b32 s20, 0
	s_cbranch_execz .LBB1_462
	s_branch .LBB1_463
.LBB1_461:                              ;   in Loop: Header=BB1_428 Depth=3
	s_wait_xcnt 0x0
	s_add_nc_u64 s[0:1], s[12:13], 8
	s_mov_b32 s20, 0
.LBB1_462:                              ;   in Loop: Header=BB1_428 Depth=3
	global_load_b64 v[16:17], v45, s[12:13]
	s_add_co_i32 s20, s21, -8
.LBB1_463:                              ;   in Loop: Header=BB1_428 Depth=3
	s_delay_alu instid0(SALU_CYCLE_1)
	s_cmp_gt_u32 s20, 7
	s_cbranch_scc1 .LBB1_468
; %bb.464:                              ;   in Loop: Header=BB1_428 Depth=3
	v_mov_b64_e32 v[18:19], 0
	s_cmp_eq_u32 s20, 0
	s_cbranch_scc1 .LBB1_467
; %bb.465:                              ;   in Loop: Header=BB1_428 Depth=3
	s_wait_xcnt 0x0
	s_mov_b64 s[12:13], 0
	s_mov_b64 s[14:15], 0
.LBB1_466:                              ;   Parent Loop BB1_13 Depth=1
                                        ;     Parent Loop BB1_221 Depth=2
                                        ;       Parent Loop BB1_428 Depth=3
                                        ; =>      This Inner Loop Header: Depth=4
	s_wait_xcnt 0x0
	s_add_nc_u64 s[22:23], s[0:1], s[14:15]
	s_add_nc_u64 s[14:15], s[14:15], 1
	global_load_u8 v2, v45, s[22:23]
	s_cmp_lg_u32 s20, s14
	s_wait_loadcnt 0x0
	v_and_b32_e32 v44, 0xffff, v2
	s_delay_alu instid0(VALU_DEP_1) | instskip(SKIP_1) | instid1(VALU_DEP_1)
	v_lshlrev_b64_e32 v[2:3], s12, v[44:45]
	s_add_nc_u64 s[12:13], s[12:13], 8
	v_or_b32_e32 v18, v2, v18
	s_delay_alu instid0(VALU_DEP_2)
	v_or_b32_e32 v19, v3, v19
	s_cbranch_scc1 .LBB1_466
.LBB1_467:                              ;   in Loop: Header=BB1_428 Depth=3
	s_wait_xcnt 0x0
	s_mov_b64 s[12:13], s[0:1]
	s_mov_b32 s21, 0
	s_cbranch_execz .LBB1_469
	s_branch .LBB1_470
.LBB1_468:                              ;   in Loop: Header=BB1_428 Depth=3
	s_wait_xcnt 0x0
	s_add_nc_u64 s[12:13], s[0:1], 8
                                        ; implicit-def: $vgpr18_vgpr19
	s_mov_b32 s21, 0
.LBB1_469:                              ;   in Loop: Header=BB1_428 Depth=3
	global_load_b64 v[18:19], v45, s[0:1]
	s_add_co_i32 s21, s20, -8
.LBB1_470:                              ;   in Loop: Header=BB1_428 Depth=3
	s_delay_alu instid0(SALU_CYCLE_1)
	s_cmp_gt_u32 s21, 7
	s_cbranch_scc1 .LBB1_475
; %bb.471:                              ;   in Loop: Header=BB1_428 Depth=3
	v_mov_b64_e32 v[20:21], 0
	s_cmp_eq_u32 s21, 0
	s_cbranch_scc1 .LBB1_474
; %bb.472:                              ;   in Loop: Header=BB1_428 Depth=3
	s_wait_xcnt 0x0
	s_mov_b64 s[0:1], 0
	s_mov_b64 s[14:15], s[12:13]
.LBB1_473:                              ;   Parent Loop BB1_13 Depth=1
                                        ;     Parent Loop BB1_221 Depth=2
                                        ;       Parent Loop BB1_428 Depth=3
                                        ; =>      This Inner Loop Header: Depth=4
	global_load_u8 v2, v45, s[14:15]
	s_add_co_i32 s21, s21, -1
	s_wait_xcnt 0x0
	s_add_nc_u64 s[14:15], s[14:15], 1
	s_cmp_lg_u32 s21, 0
	s_wait_loadcnt 0x0
	v_and_b32_e32 v44, 0xffff, v2
	s_delay_alu instid0(VALU_DEP_1) | instskip(SKIP_1) | instid1(VALU_DEP_1)
	v_lshlrev_b64_e32 v[2:3], s0, v[44:45]
	s_add_nc_u64 s[0:1], s[0:1], 8
	v_or_b32_e32 v20, v2, v20
	s_delay_alu instid0(VALU_DEP_2)
	v_or_b32_e32 v21, v3, v21
	s_cbranch_scc1 .LBB1_473
.LBB1_474:                              ;   in Loop: Header=BB1_428 Depth=3
	s_wait_xcnt 0x0
	s_cbranch_execz .LBB1_476
	s_branch .LBB1_477
.LBB1_475:                              ;   in Loop: Header=BB1_428 Depth=3
	s_wait_xcnt 0x0
.LBB1_476:                              ;   in Loop: Header=BB1_428 Depth=3
	global_load_b64 v[20:21], v45, s[12:13]
.LBB1_477:                              ;   in Loop: Header=BB1_428 Depth=3
	v_readfirstlane_b32 s0, v100
	v_mov_b64_e32 v[2:3], 0
	s_delay_alu instid0(VALU_DEP_2)
	v_cmp_eq_u32_e64 s0, s0, v100
	s_wait_xcnt 0x0
	s_and_saveexec_b32 s1, s0
	s_cbranch_execz .LBB1_483
; %bb.478:                              ;   in Loop: Header=BB1_428 Depth=3
	global_load_b64 v[24:25], v45, s[2:3] offset:24 scope:SCOPE_SYS
	s_wait_loadcnt 0x0
	global_inv scope:SCOPE_SYS
	s_clause 0x1
	global_load_b64 v[2:3], v45, s[2:3] offset:40
	global_load_b64 v[22:23], v45, s[2:3]
	s_mov_b32 s12, exec_lo
	s_wait_loadcnt 0x1
	v_and_b32_e32 v2, v2, v24
	v_and_b32_e32 v3, v3, v25
	s_delay_alu instid0(VALU_DEP_1) | instskip(SKIP_1) | instid1(VALU_DEP_1)
	v_mul_u64_e32 v[2:3], 24, v[2:3]
	s_wait_loadcnt 0x0
	v_add_nc_u64_e32 v[2:3], v[22:23], v[2:3]
	global_load_b64 v[22:23], v[2:3], off scope:SCOPE_SYS
	s_wait_xcnt 0x0
	s_wait_loadcnt 0x0
	global_atomic_cmpswap_b64 v[2:3], v45, v[22:25], s[2:3] offset:24 th:TH_ATOMIC_RETURN scope:SCOPE_SYS
	s_wait_loadcnt 0x0
	global_inv scope:SCOPE_SYS
	s_wait_xcnt 0x0
	v_cmpx_ne_u64_e64 v[2:3], v[24:25]
	s_cbranch_execz .LBB1_482
; %bb.479:                              ;   in Loop: Header=BB1_428 Depth=3
	s_mov_b32 s13, 0
.LBB1_480:                              ;   Parent Loop BB1_13 Depth=1
                                        ;     Parent Loop BB1_221 Depth=2
                                        ;       Parent Loop BB1_428 Depth=3
                                        ; =>      This Inner Loop Header: Depth=4
	s_sleep 1
	s_clause 0x1
	global_load_b64 v[22:23], v45, s[2:3] offset:40
	global_load_b64 v[30:31], v45, s[2:3]
	v_mov_b64_e32 v[24:25], v[2:3]
	s_wait_loadcnt 0x1
	s_delay_alu instid0(VALU_DEP_1) | instskip(NEXT) | instid1(VALU_DEP_2)
	v_and_b32_e32 v2, v22, v24
	v_and_b32_e32 v22, v23, v25
	s_wait_loadcnt 0x0
	s_delay_alu instid0(VALU_DEP_2) | instskip(NEXT) | instid1(VALU_DEP_1)
	v_mad_nc_u64_u32 v[2:3], v2, 24, v[30:31]
	v_mad_u32 v3, v22, 24, v3
	global_load_b64 v[22:23], v[2:3], off scope:SCOPE_SYS
	s_wait_xcnt 0x0
	s_wait_loadcnt 0x0
	global_atomic_cmpswap_b64 v[2:3], v45, v[22:25], s[2:3] offset:24 th:TH_ATOMIC_RETURN scope:SCOPE_SYS
	s_wait_loadcnt 0x0
	global_inv scope:SCOPE_SYS
	v_cmp_eq_u64_e32 vcc_lo, v[2:3], v[24:25]
	s_or_b32 s13, vcc_lo, s13
	s_wait_xcnt 0x0
	s_and_not1_b32 exec_lo, exec_lo, s13
	s_cbranch_execnz .LBB1_480
; %bb.481:                              ;   in Loop: Header=BB1_428 Depth=3
	s_or_b32 exec_lo, exec_lo, s13
.LBB1_482:                              ;   in Loop: Header=BB1_428 Depth=3
	s_delay_alu instid0(SALU_CYCLE_1)
	s_or_b32 exec_lo, exec_lo, s12
.LBB1_483:                              ;   in Loop: Header=BB1_428 Depth=3
	s_delay_alu instid0(SALU_CYCLE_1)
	s_or_b32 exec_lo, exec_lo, s1
	s_clause 0x1
	global_load_b64 v[30:31], v45, s[2:3] offset:40
	global_load_b128 v[22:25], v45, s[2:3]
	v_readfirstlane_b32 s12, v2
	v_readfirstlane_b32 s13, v3
	s_mov_b32 s1, exec_lo
	s_wait_loadcnt 0x1
	v_and_b32_e32 v30, s12, v30
	v_and_b32_e32 v31, s13, v31
	s_delay_alu instid0(VALU_DEP_1) | instskip(SKIP_1) | instid1(VALU_DEP_1)
	v_mul_u64_e32 v[2:3], 24, v[30:31]
	s_wait_loadcnt 0x0
	v_add_nc_u64_e32 v[2:3], v[22:23], v[2:3]
	s_wait_xcnt 0x0
	s_and_saveexec_b32 s14, s0
	s_cbranch_execz .LBB1_485
; %bb.484:                              ;   in Loop: Header=BB1_428 Depth=3
	v_mov_b32_e32 v44, s1
	global_store_b128 v[2:3], v[44:47], off offset:8
.LBB1_485:                              ;   in Loop: Header=BB1_428 Depth=3
	s_wait_xcnt 0x0
	s_or_b32 exec_lo, exec_lo, s14
	v_cmp_gt_u64_e64 s1, s[4:5], 56
	v_lshlrev_b64_e32 v[30:31], 12, v[30:31]
	v_and_b32_e32 v6, 0xffffff1f, v6
	s_and_b32 s1, s1, exec_lo
	s_delay_alu instid0(VALU_DEP_2) | instskip(SKIP_4) | instid1(VALU_DEP_2)
	v_add_nc_u64_e32 v[24:25], v[24:25], v[30:31]
	s_cselect_b32 s1, 0, 2
	s_lshl_b32 s14, s10, 2
	v_or_b32_e32 v6, s1, v6
	s_add_co_i32 s1, s14, 28
	v_readfirstlane_b32 s14, v24
	s_delay_alu instid0(VALU_DEP_3) | instskip(NEXT) | instid1(VALU_DEP_3)
	v_readfirstlane_b32 s15, v25
	v_and_or_b32 v6, 0x1e0, s1, v6
	s_clause 0x3
	global_store_b128 v28, v[6:9], s[14:15]
	global_store_b128 v28, v[10:13], s[14:15] offset:16
	global_store_b128 v28, v[14:17], s[14:15] offset:32
	;; [unrolled: 1-line block ×3, first 2 shown]
	s_wait_xcnt 0x0
	s_and_saveexec_b32 s1, s0
	s_cbranch_execz .LBB1_493
; %bb.486:                              ;   in Loop: Header=BB1_428 Depth=3
	s_clause 0x1
	global_load_b64 v[14:15], v45, s[2:3] offset:32 scope:SCOPE_SYS
	global_load_b64 v[6:7], v45, s[2:3] offset:40
	s_mov_b32 s14, exec_lo
	v_dual_mov_b32 v12, s12 :: v_dual_mov_b32 v13, s13
	s_wait_loadcnt 0x0
	v_and_b32_e32 v7, s13, v7
	v_and_b32_e32 v6, s12, v6
	s_delay_alu instid0(VALU_DEP_1) | instskip(NEXT) | instid1(VALU_DEP_1)
	v_mul_u64_e32 v[6:7], 24, v[6:7]
	v_add_nc_u64_e32 v[10:11], v[22:23], v[6:7]
	global_store_b64 v[10:11], v[14:15], off
	global_wb scope:SCOPE_SYS
	s_wait_storecnt 0x0
	s_wait_xcnt 0x0
	global_atomic_cmpswap_b64 v[8:9], v45, v[12:15], s[2:3] offset:32 th:TH_ATOMIC_RETURN scope:SCOPE_SYS
	s_wait_loadcnt 0x0
	v_cmpx_ne_u64_e64 v[8:9], v[14:15]
	s_cbranch_execz .LBB1_489
; %bb.487:                              ;   in Loop: Header=BB1_428 Depth=3
	s_mov_b32 s15, 0
.LBB1_488:                              ;   Parent Loop BB1_13 Depth=1
                                        ;     Parent Loop BB1_221 Depth=2
                                        ;       Parent Loop BB1_428 Depth=3
                                        ; =>      This Inner Loop Header: Depth=4
	v_dual_mov_b32 v6, s12 :: v_dual_mov_b32 v7, s13
	s_sleep 1
	global_store_b64 v[10:11], v[8:9], off
	global_wb scope:SCOPE_SYS
	s_wait_storecnt 0x0
	s_wait_xcnt 0x0
	global_atomic_cmpswap_b64 v[6:7], v45, v[6:9], s[2:3] offset:32 th:TH_ATOMIC_RETURN scope:SCOPE_SYS
	s_wait_loadcnt 0x0
	v_cmp_eq_u64_e32 vcc_lo, v[6:7], v[8:9]
	v_mov_b64_e32 v[8:9], v[6:7]
	s_or_b32 s15, vcc_lo, s15
	s_delay_alu instid0(SALU_CYCLE_1)
	s_and_not1_b32 exec_lo, exec_lo, s15
	s_cbranch_execnz .LBB1_488
.LBB1_489:                              ;   in Loop: Header=BB1_428 Depth=3
	s_or_b32 exec_lo, exec_lo, s14
	global_load_b64 v[6:7], v45, s[2:3] offset:16
	s_mov_b32 s15, exec_lo
	s_mov_b32 s14, exec_lo
	v_mbcnt_lo_u32_b32 v8, s15, 0
	s_wait_xcnt 0x0
	s_delay_alu instid0(VALU_DEP_1)
	v_cmpx_eq_u32_e32 0, v8
	s_cbranch_execz .LBB1_491
; %bb.490:                              ;   in Loop: Header=BB1_428 Depth=3
	s_bcnt1_i32_b32 s15, s15
	s_delay_alu instid0(SALU_CYCLE_1)
	v_mov_b32_e32 v44, s15
	global_wb scope:SCOPE_SYS
	s_wait_loadcnt 0x0
	s_wait_storecnt 0x0
	global_atomic_add_u64 v[6:7], v[44:45], off offset:8 scope:SCOPE_SYS
.LBB1_491:                              ;   in Loop: Header=BB1_428 Depth=3
	s_wait_xcnt 0x0
	s_or_b32 exec_lo, exec_lo, s14
	s_wait_loadcnt 0x0
	global_load_b64 v[8:9], v[6:7], off offset:16
	s_wait_loadcnt 0x0
	v_cmp_eq_u64_e32 vcc_lo, 0, v[8:9]
	s_cbranch_vccnz .LBB1_493
; %bb.492:                              ;   in Loop: Header=BB1_428 Depth=3
	global_load_b32 v44, v[6:7], off offset:24
	s_wait_loadcnt 0x0
	v_readfirstlane_b32 s14, v44
	global_wb scope:SCOPE_SYS
	s_wait_storecnt 0x0
	s_wait_xcnt 0x0
	global_store_b64 v[8:9], v[44:45], off scope:SCOPE_SYS
	s_and_b32 m0, s14, 0xffffff
	s_sendmsg sendmsg(MSG_INTERRUPT)
.LBB1_493:                              ;   in Loop: Header=BB1_428 Depth=3
	s_wait_xcnt 0x0
	s_or_b32 exec_lo, exec_lo, s1
	v_mov_b32_e32 v29, v45
	s_delay_alu instid0(VALU_DEP_1)
	v_add_nc_u64_e32 v[6:7], v[24:25], v[28:29]
	s_branch .LBB1_497
.LBB1_494:                              ;   in Loop: Header=BB1_497 Depth=4
	s_wait_xcnt 0x0
	s_or_b32 exec_lo, exec_lo, s1
	s_delay_alu instid0(VALU_DEP_1)
	v_readfirstlane_b32 s1, v8
	s_cmp_eq_u32 s1, 0
	s_cbranch_scc1 .LBB1_496
; %bb.495:                              ;   in Loop: Header=BB1_497 Depth=4
	s_sleep 1
	s_cbranch_execnz .LBB1_497
	s_branch .LBB1_499
.LBB1_496:                              ;   in Loop: Header=BB1_428 Depth=3
	s_branch .LBB1_499
.LBB1_497:                              ;   Parent Loop BB1_13 Depth=1
                                        ;     Parent Loop BB1_221 Depth=2
                                        ;       Parent Loop BB1_428 Depth=3
                                        ; =>      This Inner Loop Header: Depth=4
	v_mov_b32_e32 v8, 1
	s_and_saveexec_b32 s1, s0
	s_cbranch_execz .LBB1_494
; %bb.498:                              ;   in Loop: Header=BB1_497 Depth=4
	global_load_b32 v8, v[2:3], off offset:20 scope:SCOPE_SYS
	s_wait_loadcnt 0x0
	global_inv scope:SCOPE_SYS
	v_and_b32_e32 v8, 1, v8
	s_branch .LBB1_494
.LBB1_499:                              ;   in Loop: Header=BB1_428 Depth=3
	global_load_b128 v[6:9], v[6:7], off
	s_wait_xcnt 0x0
	s_and_saveexec_b32 s14, s0
	s_cbranch_execz .LBB1_427
; %bb.500:                              ;   in Loop: Header=BB1_428 Depth=3
	s_clause 0x1
	global_load_b64 v[2:3], v45, s[2:3] offset:40
	global_load_b64 v[12:13], v45, s[2:3] offset:24 scope:SCOPE_SYS
	s_wait_loadcnt 0x2
	global_load_b64 v[8:9], v45, s[2:3]
	s_wait_loadcnt 0x2
	v_readfirstlane_b32 s20, v2
	v_readfirstlane_b32 s21, v3
	s_add_nc_u64 s[0:1], s[20:21], 1
	s_delay_alu instid0(SALU_CYCLE_1) | instskip(NEXT) | instid1(SALU_CYCLE_1)
	s_add_nc_u64 s[12:13], s[0:1], s[12:13]
	s_cmp_eq_u64 s[12:13], 0
	s_cselect_b32 s1, s1, s13
	s_cselect_b32 s0, s0, s12
	s_delay_alu instid0(SALU_CYCLE_1) | instskip(SKIP_1) | instid1(SALU_CYCLE_1)
	v_dual_mov_b32 v11, s1 :: v_dual_mov_b32 v10, s0
	s_and_b64 s[12:13], s[0:1], s[20:21]
	s_mul_u64 s[12:13], s[12:13], 24
	s_wait_loadcnt 0x0
	v_add_nc_u64_e32 v[2:3], s[12:13], v[8:9]
	global_store_b64 v[2:3], v[12:13], off
	global_wb scope:SCOPE_SYS
	s_wait_storecnt 0x0
	s_wait_xcnt 0x0
	global_atomic_cmpswap_b64 v[10:11], v45, v[10:13], s[2:3] offset:24 th:TH_ATOMIC_RETURN scope:SCOPE_SYS
	s_wait_loadcnt 0x0
	v_cmp_ne_u64_e32 vcc_lo, v[10:11], v[12:13]
	s_and_b32 exec_lo, exec_lo, vcc_lo
	s_cbranch_execz .LBB1_427
; %bb.501:                              ;   in Loop: Header=BB1_428 Depth=3
	s_mov_b32 s12, 0
.LBB1_502:                              ;   Parent Loop BB1_13 Depth=1
                                        ;     Parent Loop BB1_221 Depth=2
                                        ;       Parent Loop BB1_428 Depth=3
                                        ; =>      This Inner Loop Header: Depth=4
	v_dual_mov_b32 v8, s0 :: v_dual_mov_b32 v9, s1
	s_sleep 1
	global_store_b64 v[2:3], v[10:11], off
	global_wb scope:SCOPE_SYS
	s_wait_storecnt 0x0
	s_wait_xcnt 0x0
	global_atomic_cmpswap_b64 v[8:9], v45, v[8:11], s[2:3] offset:24 th:TH_ATOMIC_RETURN scope:SCOPE_SYS
	s_wait_loadcnt 0x0
	v_cmp_eq_u64_e32 vcc_lo, v[8:9], v[10:11]
	v_mov_b64_e32 v[10:11], v[8:9]
	s_or_b32 s12, vcc_lo, s12
	s_delay_alu instid0(SALU_CYCLE_1)
	s_and_not1_b32 exec_lo, exec_lo, s12
	s_cbranch_execnz .LBB1_502
	s_branch .LBB1_427
.LBB1_503:                              ;   in Loop: Header=BB1_221 Depth=2
	s_branch .LBB1_531
.LBB1_504:                              ;   in Loop: Header=BB1_221 Depth=2
	s_cbranch_execz .LBB1_531
; %bb.505:                              ;   in Loop: Header=BB1_221 Depth=2
	v_readfirstlane_b32 s0, v100
	v_mov_b64_e32 v[2:3], 0
	s_delay_alu instid0(VALU_DEP_2)
	v_cmp_eq_u32_e64 s0, s0, v100
	s_and_saveexec_b32 s1, s0
	s_cbranch_execz .LBB1_511
; %bb.506:                              ;   in Loop: Header=BB1_221 Depth=2
	s_wait_loadcnt 0x0
	global_load_b64 v[8:9], v45, s[2:3] offset:24 scope:SCOPE_SYS
	s_wait_loadcnt 0x0
	global_inv scope:SCOPE_SYS
	s_clause 0x1
	global_load_b64 v[2:3], v45, s[2:3] offset:40
	global_load_b64 v[6:7], v45, s[2:3]
	s_mov_b32 s4, exec_lo
	s_wait_loadcnt 0x1
	v_and_b32_e32 v2, v2, v8
	v_and_b32_e32 v3, v3, v9
	s_delay_alu instid0(VALU_DEP_1) | instskip(SKIP_1) | instid1(VALU_DEP_1)
	v_mul_u64_e32 v[2:3], 24, v[2:3]
	s_wait_loadcnt 0x0
	v_add_nc_u64_e32 v[2:3], v[6:7], v[2:3]
	global_load_b64 v[6:7], v[2:3], off scope:SCOPE_SYS
	s_wait_xcnt 0x0
	s_wait_loadcnt 0x0
	global_atomic_cmpswap_b64 v[2:3], v45, v[6:9], s[2:3] offset:24 th:TH_ATOMIC_RETURN scope:SCOPE_SYS
	s_wait_loadcnt 0x0
	global_inv scope:SCOPE_SYS
	s_wait_xcnt 0x0
	v_cmpx_ne_u64_e64 v[2:3], v[8:9]
	s_cbranch_execz .LBB1_510
; %bb.507:                              ;   in Loop: Header=BB1_221 Depth=2
	s_mov_b32 s5, 0
.LBB1_508:                              ;   Parent Loop BB1_13 Depth=1
                                        ;     Parent Loop BB1_221 Depth=2
                                        ; =>    This Inner Loop Header: Depth=3
	s_sleep 1
	s_clause 0x1
	global_load_b64 v[6:7], v45, s[2:3] offset:40
	global_load_b64 v[10:11], v45, s[2:3]
	v_mov_b64_e32 v[8:9], v[2:3]
	s_wait_loadcnt 0x1
	s_delay_alu instid0(VALU_DEP_1) | instskip(NEXT) | instid1(VALU_DEP_2)
	v_and_b32_e32 v2, v6, v8
	v_and_b32_e32 v6, v7, v9
	s_wait_loadcnt 0x0
	s_delay_alu instid0(VALU_DEP_2) | instskip(NEXT) | instid1(VALU_DEP_1)
	v_mad_nc_u64_u32 v[2:3], v2, 24, v[10:11]
	v_mad_u32 v3, v6, 24, v3
	global_load_b64 v[6:7], v[2:3], off scope:SCOPE_SYS
	s_wait_xcnt 0x0
	s_wait_loadcnt 0x0
	global_atomic_cmpswap_b64 v[2:3], v45, v[6:9], s[2:3] offset:24 th:TH_ATOMIC_RETURN scope:SCOPE_SYS
	s_wait_loadcnt 0x0
	global_inv scope:SCOPE_SYS
	v_cmp_eq_u64_e32 vcc_lo, v[2:3], v[8:9]
	s_or_b32 s5, vcc_lo, s5
	s_wait_xcnt 0x0
	s_and_not1_b32 exec_lo, exec_lo, s5
	s_cbranch_execnz .LBB1_508
; %bb.509:                              ;   in Loop: Header=BB1_221 Depth=2
	s_or_b32 exec_lo, exec_lo, s5
.LBB1_510:                              ;   in Loop: Header=BB1_221 Depth=2
	s_delay_alu instid0(SALU_CYCLE_1)
	s_or_b32 exec_lo, exec_lo, s4
.LBB1_511:                              ;   in Loop: Header=BB1_221 Depth=2
	s_delay_alu instid0(SALU_CYCLE_1)
	s_or_b32 exec_lo, exec_lo, s1
	global_load_b64 v[10:11], v45, s[2:3] offset:40
	s_wait_loadcnt 0x1
	global_load_b128 v[6:9], v45, s[2:3]
	v_readfirstlane_b32 s4, v2
	v_readfirstlane_b32 s5, v3
	s_mov_b32 s1, exec_lo
	s_wait_loadcnt 0x1
	v_and_b32_e32 v2, s4, v10
	v_and_b32_e32 v3, s5, v11
	s_delay_alu instid0(VALU_DEP_1) | instskip(SKIP_1) | instid1(VALU_DEP_1)
	v_mul_u64_e32 v[10:11], 24, v[2:3]
	s_wait_loadcnt 0x0
	v_add_nc_u64_e32 v[10:11], v[6:7], v[10:11]
	s_wait_xcnt 0x0
	s_and_saveexec_b32 s6, s0
	s_cbranch_execz .LBB1_513
; %bb.512:                              ;   in Loop: Header=BB1_221 Depth=2
	v_mov_b32_e32 v44, s1
	global_store_b128 v[10:11], v[44:47], off offset:8
.LBB1_513:                              ;   in Loop: Header=BB1_221 Depth=2
	s_wait_xcnt 0x0
	s_or_b32 exec_lo, exec_lo, s6
	v_lshlrev_b64_e32 v[2:3], 12, v[2:3]
	s_mov_b32 s41, s40
	s_mov_b32 s42, s40
	;; [unrolled: 1-line block ×3, first 2 shown]
	v_mov_b64_e32 v[12:13], s[40:41]
	v_mov_b64_e32 v[14:15], s[42:43]
	v_and_or_b32 v0, 0xffffff1d, v0, 34
	v_add_nc_u64_e32 v[8:9], v[8:9], v[2:3]
	v_dual_mov_b32 v2, v45 :: v_dual_mov_b32 v3, v45
	s_delay_alu instid0(VALU_DEP_2) | instskip(NEXT) | instid1(VALU_DEP_3)
	v_readfirstlane_b32 s6, v8
	v_readfirstlane_b32 s7, v9
	s_clause 0x3
	global_store_b128 v28, v[0:3], s[6:7]
	global_store_b128 v28, v[12:15], s[6:7] offset:16
	global_store_b128 v28, v[12:15], s[6:7] offset:32
	;; [unrolled: 1-line block ×3, first 2 shown]
	s_wait_xcnt 0x0
	s_and_saveexec_b32 s1, s0
	s_cbranch_execz .LBB1_521
; %bb.514:                              ;   in Loop: Header=BB1_221 Depth=2
	s_clause 0x1
	global_load_b64 v[14:15], v45, s[2:3] offset:32 scope:SCOPE_SYS
	global_load_b64 v[0:1], v45, s[2:3] offset:40
	s_mov_b32 s6, exec_lo
	v_dual_mov_b32 v12, s4 :: v_dual_mov_b32 v13, s5
	s_wait_loadcnt 0x0
	v_and_b32_e32 v1, s5, v1
	v_and_b32_e32 v0, s4, v0
	s_delay_alu instid0(VALU_DEP_1) | instskip(NEXT) | instid1(VALU_DEP_1)
	v_mul_u64_e32 v[0:1], 24, v[0:1]
	v_add_nc_u64_e32 v[6:7], v[6:7], v[0:1]
	global_store_b64 v[6:7], v[14:15], off
	global_wb scope:SCOPE_SYS
	s_wait_storecnt 0x0
	s_wait_xcnt 0x0
	global_atomic_cmpswap_b64 v[2:3], v45, v[12:15], s[2:3] offset:32 th:TH_ATOMIC_RETURN scope:SCOPE_SYS
	s_wait_loadcnt 0x0
	v_cmpx_ne_u64_e64 v[2:3], v[14:15]
	s_cbranch_execz .LBB1_517
; %bb.515:                              ;   in Loop: Header=BB1_221 Depth=2
	s_mov_b32 s7, 0
.LBB1_516:                              ;   Parent Loop BB1_13 Depth=1
                                        ;     Parent Loop BB1_221 Depth=2
                                        ; =>    This Inner Loop Header: Depth=3
	v_dual_mov_b32 v0, s4 :: v_dual_mov_b32 v1, s5
	s_sleep 1
	global_store_b64 v[6:7], v[2:3], off
	global_wb scope:SCOPE_SYS
	s_wait_storecnt 0x0
	s_wait_xcnt 0x0
	global_atomic_cmpswap_b64 v[0:1], v45, v[0:3], s[2:3] offset:32 th:TH_ATOMIC_RETURN scope:SCOPE_SYS
	s_wait_loadcnt 0x0
	v_cmp_eq_u64_e32 vcc_lo, v[0:1], v[2:3]
	v_mov_b64_e32 v[2:3], v[0:1]
	s_or_b32 s7, vcc_lo, s7
	s_delay_alu instid0(SALU_CYCLE_1)
	s_and_not1_b32 exec_lo, exec_lo, s7
	s_cbranch_execnz .LBB1_516
.LBB1_517:                              ;   in Loop: Header=BB1_221 Depth=2
	s_or_b32 exec_lo, exec_lo, s6
	global_load_b64 v[0:1], v45, s[2:3] offset:16
	s_mov_b32 s7, exec_lo
	s_mov_b32 s6, exec_lo
	v_mbcnt_lo_u32_b32 v2, s7, 0
	s_wait_xcnt 0x0
	s_delay_alu instid0(VALU_DEP_1)
	v_cmpx_eq_u32_e32 0, v2
	s_cbranch_execz .LBB1_519
; %bb.518:                              ;   in Loop: Header=BB1_221 Depth=2
	s_bcnt1_i32_b32 s7, s7
	s_delay_alu instid0(SALU_CYCLE_1)
	v_mov_b32_e32 v44, s7
	global_wb scope:SCOPE_SYS
	s_wait_loadcnt 0x0
	s_wait_storecnt 0x0
	global_atomic_add_u64 v[0:1], v[44:45], off offset:8 scope:SCOPE_SYS
.LBB1_519:                              ;   in Loop: Header=BB1_221 Depth=2
	s_wait_xcnt 0x0
	s_or_b32 exec_lo, exec_lo, s6
	s_wait_loadcnt 0x0
	global_load_b64 v[2:3], v[0:1], off offset:16
	s_wait_loadcnt 0x0
	v_cmp_eq_u64_e32 vcc_lo, 0, v[2:3]
	s_cbranch_vccnz .LBB1_521
; %bb.520:                              ;   in Loop: Header=BB1_221 Depth=2
	global_load_b32 v44, v[0:1], off offset:24
	s_wait_loadcnt 0x0
	v_readfirstlane_b32 s6, v44
	global_wb scope:SCOPE_SYS
	s_wait_storecnt 0x0
	s_wait_xcnt 0x0
	global_store_b64 v[2:3], v[44:45], off scope:SCOPE_SYS
	s_and_b32 m0, s6, 0xffffff
	s_sendmsg sendmsg(MSG_INTERRUPT)
.LBB1_521:                              ;   in Loop: Header=BB1_221 Depth=2
	s_wait_xcnt 0x0
	s_or_b32 exec_lo, exec_lo, s1
	s_branch .LBB1_525
.LBB1_522:                              ;   in Loop: Header=BB1_525 Depth=3
	s_wait_xcnt 0x0
	s_or_b32 exec_lo, exec_lo, s1
	s_delay_alu instid0(VALU_DEP_1)
	v_readfirstlane_b32 s1, v0
	s_cmp_eq_u32 s1, 0
	s_cbranch_scc1 .LBB1_524
; %bb.523:                              ;   in Loop: Header=BB1_525 Depth=3
	s_sleep 1
	s_cbranch_execnz .LBB1_525
	s_branch .LBB1_527
.LBB1_524:                              ;   in Loop: Header=BB1_221 Depth=2
	s_branch .LBB1_527
.LBB1_525:                              ;   Parent Loop BB1_13 Depth=1
                                        ;     Parent Loop BB1_221 Depth=2
                                        ; =>    This Inner Loop Header: Depth=3
	v_mov_b32_e32 v0, 1
	s_and_saveexec_b32 s1, s0
	s_cbranch_execz .LBB1_522
; %bb.526:                              ;   in Loop: Header=BB1_525 Depth=3
	global_load_b32 v0, v[10:11], off offset:20 scope:SCOPE_SYS
	s_wait_loadcnt 0x0
	global_inv scope:SCOPE_SYS
	v_and_b32_e32 v0, 1, v0
	s_branch .LBB1_522
.LBB1_527:                              ;   in Loop: Header=BB1_221 Depth=2
	s_and_b32 exec_lo, exec_lo, s0
	s_cbranch_execz .LBB1_531
; %bb.528:                              ;   in Loop: Header=BB1_221 Depth=2
	s_clause 0x2
	global_load_b64 v[0:1], v45, s[2:3] offset:40
	global_load_b64 v[10:11], v45, s[2:3] offset:24 scope:SCOPE_SYS
	global_load_b64 v[2:3], v45, s[2:3]
	s_wait_loadcnt 0x2
	v_readfirstlane_b32 s6, v0
	v_readfirstlane_b32 s7, v1
	s_add_nc_u64 s[0:1], s[6:7], 1
	s_delay_alu instid0(SALU_CYCLE_1) | instskip(NEXT) | instid1(SALU_CYCLE_1)
	s_add_nc_u64 s[4:5], s[0:1], s[4:5]
	s_cmp_eq_u64 s[4:5], 0
	s_cselect_b32 s1, s1, s5
	s_cselect_b32 s0, s0, s4
	s_delay_alu instid0(SALU_CYCLE_1) | instskip(SKIP_1) | instid1(SALU_CYCLE_1)
	v_dual_mov_b32 v9, s1 :: v_dual_mov_b32 v8, s0
	s_and_b64 s[4:5], s[0:1], s[6:7]
	s_mul_u64 s[4:5], s[4:5], 24
	s_wait_loadcnt 0x0
	v_add_nc_u64_e32 v[6:7], s[4:5], v[2:3]
	global_store_b64 v[6:7], v[10:11], off
	global_wb scope:SCOPE_SYS
	s_wait_storecnt 0x0
	s_wait_xcnt 0x0
	global_atomic_cmpswap_b64 v[2:3], v45, v[8:11], s[2:3] offset:24 th:TH_ATOMIC_RETURN scope:SCOPE_SYS
	s_wait_loadcnt 0x0
	v_cmp_ne_u64_e32 vcc_lo, v[2:3], v[10:11]
	s_and_b32 exec_lo, exec_lo, vcc_lo
	s_cbranch_execz .LBB1_531
; %bb.529:                              ;   in Loop: Header=BB1_221 Depth=2
	s_mov_b32 s4, 0
.LBB1_530:                              ;   Parent Loop BB1_13 Depth=1
                                        ;     Parent Loop BB1_221 Depth=2
                                        ; =>    This Inner Loop Header: Depth=3
	v_dual_mov_b32 v0, s0 :: v_dual_mov_b32 v1, s1
	s_sleep 1
	global_store_b64 v[6:7], v[2:3], off
	global_wb scope:SCOPE_SYS
	s_wait_storecnt 0x0
	s_wait_xcnt 0x0
	global_atomic_cmpswap_b64 v[0:1], v45, v[0:3], s[2:3] offset:24 th:TH_ATOMIC_RETURN scope:SCOPE_SYS
	s_wait_loadcnt 0x0
	v_cmp_eq_u64_e32 vcc_lo, v[0:1], v[2:3]
	v_mov_b64_e32 v[2:3], v[0:1]
	s_or_b32 s4, vcc_lo, s4
	s_delay_alu instid0(SALU_CYCLE_1)
	s_and_not1_b32 exec_lo, exec_lo, s4
	s_cbranch_execnz .LBB1_530
.LBB1_531:                              ;   in Loop: Header=BB1_221 Depth=2
	s_or_b32 exec_lo, exec_lo, s19
	s_wait_loadcnt 0x0
	scratch_load_u8 v0, off, off
	v_mov_b32_e32 v2, 0x58
	s_mov_b32 s3, exec_lo
	s_clause 0x1
	global_store_b8 v[26:27], v2, off offset:48
	global_store_b32 v[26:27], v45, off offset:52
	s_wait_xcnt 0x0
	v_cmpx_lt_i32_e32 0, v33
	s_cbranch_execz .LBB1_537
; %bb.532:                              ;   in Loop: Header=BB1_221 Depth=2
	s_mov_b32 s0, 0
                                        ; implicit-def: $vgpr1
	s_mov_b32 s1, exec_lo
	v_cmpx_lt_u32_e32 3, v33
	s_xor_b32 s4, exec_lo, s1
	s_cbranch_execnz .LBB1_545
; %bb.533:                              ;   in Loop: Header=BB1_221 Depth=2
	s_and_not1_saveexec_b32 s1, s4
	s_cbranch_execnz .LBB1_564
.LBB1_534:                              ;   in Loop: Header=BB1_221 Depth=2
	s_or_b32 exec_lo, exec_lo, s1
	v_mov_b32_e32 v2, 0x58
	s_and_saveexec_b32 s1, s0
	s_cbranch_execz .LBB1_536
.LBB1_535:                              ;   in Loop: Header=BB1_221 Depth=2
	s_wait_loadcnt 0x0
	v_mov_b32_e32 v2, v1
	global_store_b8 v[26:27], v1, off offset:48
.LBB1_536:                              ;   in Loop: Header=BB1_221 Depth=2
	s_wait_xcnt 0x0
	s_or_b32 exec_lo, exec_lo, s1
.LBB1_537:                              ;   in Loop: Header=BB1_221 Depth=2
	s_delay_alu instid0(SALU_CYCLE_1) | instskip(SKIP_3) | instid1(VALU_DEP_1)
	s_or_b32 exec_lo, exec_lo, s3
	s_wait_loadcnt 0x0
	v_and_b32_e32 v1, 0xff, v2
	v_and_b32_e32 v0, 0xff, v0
	v_cmp_eq_u16_e64 s0, v0, v1
	v_cmp_ne_u16_e32 vcc_lo, v0, v1
	v_mov_b32_e32 v0, 0
	s_and_saveexec_b32 s1, vcc_lo
	s_cbranch_execz .LBB1_543
; %bb.538:                              ;   in Loop: Header=BB1_221 Depth=2
	scratch_load_u8 v0, off, off offset:16
	s_wait_loadcnt 0x0
	v_cmp_eq_u16_e64 s2, v0, v1
	v_cmp_ne_u16_e32 vcc_lo, v0, v1
	v_mov_b32_e32 v0, s60
	s_wait_xcnt 0x0
	s_and_saveexec_b32 s3, vcc_lo
	s_cbranch_execz .LBB1_542
; %bb.539:                              ;   in Loop: Header=BB1_221 Depth=2
	scratch_load_u8 v0, off, off offset:32
	s_wait_loadcnt 0x0
	v_cmp_eq_u16_e64 s4, v0, v1
	v_cmp_ne_u16_e32 vcc_lo, v0, v1
	v_mov_b32_e32 v0, s61
	s_wait_xcnt 0x0
	s_and_saveexec_b32 s5, vcc_lo
	s_cbranch_execz .LBB1_541
; %bb.540:                              ;   in Loop: Header=BB1_221 Depth=2
	scratch_load_u8 v0, off, off offset:48
	s_and_not1_b32 s4, s4, exec_lo
	s_wait_loadcnt 0x0
	v_cmp_eq_u16_e32 vcc_lo, v0, v1
	v_mov_b32_e32 v0, s62
	s_and_b32 s6, vcc_lo, exec_lo
	s_delay_alu instid0(SALU_CYCLE_1)
	s_or_b32 s4, s4, s6
.LBB1_541:                              ;   in Loop: Header=BB1_221 Depth=2
	s_wait_xcnt 0x0
	s_or_b32 exec_lo, exec_lo, s5
	s_delay_alu instid0(SALU_CYCLE_1) | instskip(SKIP_1) | instid1(SALU_CYCLE_1)
	s_and_not1_b32 s2, s2, exec_lo
	s_and_b32 s4, s4, exec_lo
	s_or_b32 s2, s2, s4
.LBB1_542:                              ;   in Loop: Header=BB1_221 Depth=2
	s_or_b32 exec_lo, exec_lo, s3
	s_delay_alu instid0(SALU_CYCLE_1) | instskip(SKIP_1) | instid1(SALU_CYCLE_1)
	s_and_not1_b32 s0, s0, exec_lo
	s_and_b32 s2, s2, exec_lo
	s_or_b32 s0, s0, s2
.LBB1_543:                              ;   in Loop: Header=BB1_221 Depth=2
	s_or_b32 exec_lo, exec_lo, s1
	s_delay_alu instid0(SALU_CYCLE_1)
	s_and_b32 exec_lo, exec_lo, s0
	s_cbranch_execz .LBB1_220
; %bb.544:                              ;   in Loop: Header=BB1_221 Depth=2
	scratch_load_b32 v0, v0, off offset:8
	s_wait_loadcnt 0x0
	global_store_b32 v[26:27], v0, off offset:52
	s_branch .LBB1_220
.LBB1_545:                              ;   in Loop: Header=BB1_221 Depth=2
                                        ; implicit-def: $vgpr1
	s_mov_b32 s1, exec_lo
	v_cmpx_lt_u32_e32 5, v33
	s_xor_b32 s5, exec_lo, s1
	s_cbranch_execz .LBB1_561
; %bb.546:                              ;   in Loop: Header=BB1_221 Depth=2
                                        ; implicit-def: $vgpr1
	s_mov_b32 s1, exec_lo
	v_cmpx_ne_u32_e32 6, v33
	s_xor_b32 s6, exec_lo, s1
	s_cbranch_execz .LBB1_558
; %bb.547:                              ;   in Loop: Header=BB1_221 Depth=2
	s_wait_loadcnt 0x0
	v_mov_b32_e32 v1, v0
	s_mov_b32 s7, exec_lo
	v_cmp_gt_i32_e32 vcc_lo, 7, v32
	v_cmpx_lt_i32_e32 6, v32
	s_cbranch_execz .LBB1_557
; %bb.548:                              ;   in Loop: Header=BB1_221 Depth=2
	scratch_load_b32 v1, off, off offset:44
	s_wait_loadcnt 0x0
	v_cmp_eq_u32_e64 s0, 7, v1
	v_cmp_ne_u32_e64 s1, 7, v1
	v_mov_b32_e32 v1, 0x46
	s_wait_xcnt 0x0
	s_and_saveexec_b32 s10, s1
	s_cbranch_execz .LBB1_556
; %bb.549:                              ;   in Loop: Header=BB1_221 Depth=2
	s_clause 0x1
	scratch_load_b32 v2, off, off offset:8
	scratch_load_b32 v3, off, off offset:24
	v_mov_b32_e32 v1, 0x46
	s_mov_b32 s11, exec_lo
	s_wait_loadcnt 0x0
	v_cmp_eq_u32_e64 s1, v2, v3
	s_wait_xcnt 0x0
	v_cmpx_ne_u32_e64 v2, v3
	s_cbranch_execz .LBB1_555
; %bb.550:                              ;   in Loop: Header=BB1_221 Depth=2
	v_mov_b32_e32 v1, v0
	s_mov_b32 s13, -1
	s_mov_b32 s12, exec_lo
	v_cmpx_le_u32_e64 v2, v3
	s_cbranch_execz .LBB1_554
; %bb.551:                              ;   in Loop: Header=BB1_221 Depth=2
	v_cmp_gt_u32_e64 s2, v3, v2
	v_mov_b32_e32 v1, v0
	s_mov_b32 s13, 0
	s_and_saveexec_b32 s14, s2
	s_delay_alu instid0(SALU_CYCLE_1)
	s_xor_b32 s2, exec_lo, s14
	s_cbranch_execz .LBB1_553
; %bb.552:                              ;   in Loop: Header=BB1_221 Depth=2
	scratch_load_u8 v1, off, off offset:16
	s_mov_b32 s13, exec_lo
.LBB1_553:                              ;   in Loop: Header=BB1_221 Depth=2
	s_wait_xcnt 0x0
	s_or_b32 exec_lo, exec_lo, s2
	s_delay_alu instid0(SALU_CYCLE_1)
	s_or_not1_b32 s13, s13, exec_lo
.LBB1_554:                              ;   in Loop: Header=BB1_221 Depth=2
	s_or_b32 exec_lo, exec_lo, s12
	s_delay_alu instid0(SALU_CYCLE_1) | instskip(SKIP_1) | instid1(SALU_CYCLE_1)
	s_and_not1_b32 s1, s1, exec_lo
	s_and_b32 s2, s13, exec_lo
	s_or_b32 s1, s1, s2
.LBB1_555:                              ;   in Loop: Header=BB1_221 Depth=2
	s_or_b32 exec_lo, exec_lo, s11
	s_delay_alu instid0(SALU_CYCLE_1) | instskip(SKIP_1) | instid1(SALU_CYCLE_1)
	s_and_not1_b32 s0, s0, exec_lo
	s_and_b32 s1, s1, exec_lo
	s_or_b32 s0, s0, s1
.LBB1_556:                              ;   in Loop: Header=BB1_221 Depth=2
	s_or_b32 exec_lo, exec_lo, s10
	s_delay_alu instid0(SALU_CYCLE_1) | instskip(SKIP_1) | instid1(SALU_CYCLE_1)
	s_and_not1_b32 s1, vcc_lo, exec_lo
	s_and_b32 s0, s0, exec_lo
	s_or_b32 vcc_lo, s1, s0
.LBB1_557:                              ;   in Loop: Header=BB1_221 Depth=2
	s_or_b32 exec_lo, exec_lo, s7
	s_delay_alu instid0(SALU_CYCLE_1)
	s_and_b32 s0, vcc_lo, exec_lo
                                        ; implicit-def: $vgpr32
.LBB1_558:                              ;   in Loop: Header=BB1_221 Depth=2
	s_and_not1_saveexec_b32 s1, s6
	s_cbranch_execz .LBB1_560
; %bb.559:                              ;   in Loop: Header=BB1_221 Depth=2
	v_cmp_gt_i32_e32 vcc_lo, 4, v32
	s_wait_loadcnt 0x0
	v_mov_b32_e32 v1, v0
	s_and_not1_b32 s0, s0, exec_lo
	s_and_b32 s2, vcc_lo, exec_lo
	s_delay_alu instid0(SALU_CYCLE_1)
	s_or_b32 s0, s0, s2
.LBB1_560:                              ;   in Loop: Header=BB1_221 Depth=2
	s_or_b32 exec_lo, exec_lo, s1
	s_delay_alu instid0(SALU_CYCLE_1)
	s_and_b32 s0, s0, exec_lo
                                        ; implicit-def: $vgpr32
.LBB1_561:                              ;   in Loop: Header=BB1_221 Depth=2
	s_and_not1_saveexec_b32 s1, s5
	s_cbranch_execz .LBB1_563
; %bb.562:                              ;   in Loop: Header=BB1_221 Depth=2
	v_cmp_gt_i32_e32 vcc_lo, 3, v32
	s_wait_loadcnt 0x0
	v_mov_b32_e32 v1, v0
	s_and_not1_b32 s0, s0, exec_lo
	s_and_b32 s2, vcc_lo, exec_lo
	s_delay_alu instid0(SALU_CYCLE_1)
	s_or_b32 s0, s0, s2
.LBB1_563:                              ;   in Loop: Header=BB1_221 Depth=2
	s_or_b32 exec_lo, exec_lo, s1
	s_delay_alu instid0(SALU_CYCLE_1)
	s_and_b32 s0, s0, exec_lo
                                        ; implicit-def: $vgpr32
	s_and_not1_saveexec_b32 s1, s4
	s_cbranch_execz .LBB1_534
.LBB1_564:                              ;   in Loop: Header=BB1_221 Depth=2
	v_cmp_eq_u32_e32 vcc_lo, 0, v32
	s_wait_loadcnt 0x0
	v_mov_b32_e32 v1, v0
	s_and_not1_b32 s0, s0, exec_lo
	s_and_b32 s2, vcc_lo, exec_lo
	s_delay_alu instid0(SALU_CYCLE_1)
	s_or_b32 s0, s0, s2
	s_or_b32 exec_lo, exec_lo, s1
	v_mov_b32_e32 v2, 0x58
	s_and_saveexec_b32 s1, s0
	s_cbranch_execnz .LBB1_535
	s_branch .LBB1_536
.LBB1_565:                              ;   in Loop: Header=BB1_13 Depth=1
	s_or_b32 exec_lo, exec_lo, s16
	s_and_saveexec_b32 s0, s34
	s_cbranch_execz .LBB1_568
; %bb.566:                              ;   in Loop: Header=BB1_13 Depth=1
	v_mov_b64_e32 v[0:1], v[72:73]
	v_mov_b32_e32 v44, v83
	s_mov_b32 s1, 0
.LBB1_567:                              ;   Parent Loop BB1_13 Depth=1
                                        ; =>  This Inner Loop Header: Depth=2
	s_delay_alu instid0(VALU_DEP_2) | instskip(NEXT) | instid1(VALU_DEP_2)
	v_mad_nc_u64_u32 v[2:3], v0, 24, v[64:65]
	v_cmp_le_u64_e32 vcc_lo, s[52:53], v[44:45]
	s_or_b32 s1, vcc_lo, s1
	s_delay_alu instid0(VALU_DEP_2)
	v_mad_u32 v3, v1, 24, v3
	v_mov_b64_e32 v[0:1], v[44:45]
	v_add_nc_u32_e32 v44, 32, v44
	global_store_b32 v[2:3], v99, off offset:8
	s_wait_xcnt 0x0
	s_and_not1_b32 exec_lo, exec_lo, s1
	s_cbranch_execnz .LBB1_567
.LBB1_568:                              ;   in Loop: Header=BB1_13 Depth=1
	s_or_b32 exec_lo, exec_lo, s0
	s_mov_b32 s4, -1
	s_mov_b32 s0, -1
	s_and_saveexec_b32 s5, s33
	s_cbranch_execz .LBB1_709
; %bb.569:                              ;   in Loop: Header=BB1_13 Depth=1
	v_dual_sub_nc_u32 v0, v43, v4 :: v_dual_max_i32 v2, 1, v4
	s_mov_b64 s[0:1], 0
	s_mov_b32 s2, 0
	s_delay_alu instid0(VALU_DEP_1) | instskip(NEXT) | instid1(VALU_DEP_1)
	v_ashrrev_i32_e32 v1, 31, v0
	v_add_nc_u64_e32 v[0:1], v[70:71], v[0:1]
.LBB1_570:                              ;   Parent Loop BB1_13 Depth=1
                                        ; =>  This Inner Loop Header: Depth=2
	s_delay_alu instid0(VALU_DEP_1) | instskip(SKIP_4) | instid1(SALU_CYCLE_1)
	v_add_nc_u64_e32 v[6:7], s[0:1], v[0:1]
	global_load_u8 v3, v[6:7], off
	s_wait_xcnt 0x0
	v_add_nc_u64_e32 v[6:7], s[0:1], v[66:67]
	s_add_nc_u64 s[0:1], s[0:1], 1
	v_cmp_eq_u32_e32 vcc_lo, s0, v2
	s_or_b32 s2, vcc_lo, s2
	s_wait_loadcnt 0x0
	global_store_b8 v[6:7], v3, off
	s_wait_xcnt 0x0
	s_and_not1_b32 exec_lo, exec_lo, s2
	s_cbranch_execnz .LBB1_570
; %bb.571:                              ;   in Loop: Header=BB1_13 Depth=1
	s_or_b32 exec_lo, exec_lo, s2
	v_dual_mov_b32 v0, v4 :: v_dual_mov_b32 v1, v45
	s_and_not1_b32 vcc_lo, exec_lo, s64
	s_cbranch_vccnz .LBB1_695
; %bb.572:                              ;   in Loop: Header=BB1_13 Depth=1
	v_mov_b64_e32 v[2:3], v[66:67]
	v_xor_b32_e32 v10, 0x3fb0bb5f, v4
	v_dual_mov_b32 v12, 0x58 :: v_dual_add_nc_u32 v11, 4, v4
	v_mov_b32_e32 v5, 0
	s_mov_b32 s6, 0
	s_mov_b32 s7, 0
	s_branch .LBB1_577
.LBB1_573:                              ;   in Loop: Header=BB1_577 Depth=2
	s_or_b32 exec_lo, exec_lo, s12
	s_and_b32 s0, vcc_lo, s0
	s_delay_alu instid0(SALU_CYCLE_1)
	s_and_b32 s0, s0, exec_lo
.LBB1_574:                              ;   in Loop: Header=BB1_577 Depth=2
	s_or_b32 exec_lo, exec_lo, s10
	s_delay_alu instid0(SALU_CYCLE_1)
	s_and_b32 s0, s0, exec_lo
.LBB1_575:                              ;   in Loop: Header=BB1_577 Depth=2
	s_or_b32 exec_lo, exec_lo, s3
	s_delay_alu instid0(SALU_CYCLE_1)
	s_and_b32 s0, s0, exec_lo
.LBB1_576:                              ;   in Loop: Header=BB1_577 Depth=2
	s_or_b32 exec_lo, exec_lo, s2
	s_add_co_i32 s7, s7, 1
	v_mov_b32_e32 v12, v14
	s_cmp_eq_u32 s7, s52
	s_cselect_b32 s1, -1, 0
	s_xor_b32 s0, s0, -1
	s_delay_alu instid0(SALU_CYCLE_1) | instskip(NEXT) | instid1(SALU_CYCLE_1)
	s_or_b32 s0, s0, s1
	s_and_b32 s0, exec_lo, s0
	s_delay_alu instid0(SALU_CYCLE_1) | instskip(NEXT) | instid1(SALU_CYCLE_1)
	s_or_b32 s6, s0, s6
	s_and_not1_b32 exec_lo, exec_lo, s6
	s_cbranch_execz .LBB1_694
.LBB1_577:                              ;   Parent Loop BB1_13 Depth=1
                                        ; =>  This Loop Header: Depth=2
                                        ;       Child Loop BB1_583 Depth 3
                                        ;       Child Loop BB1_602 Depth 3
	;; [unrolled: 1-line block ×3, first 2 shown]
                                        ;         Child Loop BB1_613 Depth 4
                                        ;       Child Loop BB1_627 Depth 3
                                        ;       Child Loop BB1_646 Depth 3
                                        ;       Child Loop BB1_655 Depth 3
                                        ;         Child Loop BB1_657 Depth 4
	v_and_b32_e32 v44, 3, v2
                                        ; implicit-def: $vgpr16
	s_delay_alu instid0(VALU_DEP_1) | instskip(SKIP_1) | instid1(SALU_CYCLE_1)
	v_cmp_ne_u32_e32 vcc_lo, 0, v44
	s_and_saveexec_b32 s0, vcc_lo
	s_xor_b32 s1, exec_lo, s0
	s_cbranch_execz .LBB1_600
; %bb.578:                              ;   in Loop: Header=BB1_577 Depth=2
	v_mov_b32_e32 v6, 0
	s_mov_b32 s2, exec_lo
	v_cmpx_gt_i32_e32 3, v44
	s_cbranch_execz .LBB1_582
; %bb.579:                              ;   in Loop: Header=BB1_577 Depth=2
	v_mov_b32_e32 v6, 0
	s_mov_b32 s3, exec_lo
	v_cmpx_ne_u32_e32 2, v44
	s_cbranch_execz .LBB1_581
; %bb.580:                              ;   in Loop: Header=BB1_577 Depth=2
	global_load_u8 v6, v[2:3], off offset:2
	s_wait_loadcnt 0x0
	v_lshlrev_b32_e32 v6, 16, v6
.LBB1_581:                              ;   in Loop: Header=BB1_577 Depth=2
	s_wait_xcnt 0x0
	s_or_b32 exec_lo, exec_lo, s3
	global_load_u8 v7, v[2:3], off offset:1
	s_wait_loadcnt 0x0
	v_lshl_or_b32 v6, v7, 8, v6
.LBB1_582:                              ;   in Loop: Header=BB1_577 Depth=2
	s_wait_xcnt 0x0
	s_or_b32 exec_lo, exec_lo, s2
	global_load_u8 v7, v[2:3], off
	v_dual_mov_b32 v9, v45 :: v_dual_sub_nc_u32 v8, 4, v44
	v_lshlrev_b32_e32 v17, 3, v44
	s_mov_b32 s2, 0
	s_delay_alu instid0(VALU_DEP_2) | instskip(SKIP_3) | instid1(VALU_DEP_2)
	v_dual_mov_b32 v14, v10 :: v_dual_lshlrev_b32 v18, 3, v8
	s_wait_loadcnt 0x0
	v_or_b32_e32 v13, v6, v7
	v_add_nc_u64_e32 v[6:7], v[2:3], v[8:9]
	v_dual_add_nc_u32 v15, v4, v44 :: v_dual_lshlrev_b32 v8, v17, v13
.LBB1_583:                              ;   Parent Loop BB1_13 Depth=1
                                        ;     Parent Loop BB1_577 Depth=2
                                        ; =>    This Inner Loop Header: Depth=3
	global_load_b32 v13, v[6:7], off
	v_dual_lshrrev_b32 v8, v17, v8 :: v_dual_add_nc_u32 v15, -4, v15
	s_wait_xcnt 0x0
	v_add_nc_u64_e32 v[6:7], 4, v[6:7]
	s_delay_alu instid0(VALU_DEP_2) | instskip(SKIP_3) | instid1(VALU_DEP_1)
	v_cmp_gt_u32_e64 s0, 8, v15
	s_or_b32 s2, s0, s2
	s_wait_loadcnt 0x0
	v_lshl_or_b32 v8, v13, v18, v8
	v_mul_lo_u32 v8, 0x5bd1e995, v8
	s_delay_alu instid0(VALU_DEP_1) | instskip(NEXT) | instid1(VALU_DEP_1)
	v_lshrrev_b32_e32 v9, 24, v8
	v_xor_b32_e32 v8, v9, v8
	v_mul_lo_u32 v9, 0x5bd1e995, v14
	s_delay_alu instid0(VALU_DEP_2) | instskip(NEXT) | instid1(VALU_DEP_1)
	v_mul_lo_u32 v14, 0x5bd1e995, v8
	v_dual_mov_b32 v8, v13 :: v_dual_bitop2_b32 v14, v14, v9 bitop3:0x14
	s_and_not1_b32 exec_lo, exec_lo, s2
	s_cbranch_execnz .LBB1_583
; %bb.584:                              ;   in Loop: Header=BB1_577 Depth=2
	s_or_b32 exec_lo, exec_lo, s2
	v_add_nc_u64_e32 v[8:9], -4, v[6:7]
	v_add_nc_u32_e32 v19, -4, v15
	s_mov_b32 s2, exec_lo
                                        ; implicit-def: $vgpr16
	s_delay_alu instid0(VALU_DEP_1)
	v_cmpx_ge_u32_e64 v19, v44
	s_xor_b32 s2, exec_lo, s2
	s_cbranch_execz .LBB1_594
; %bb.585:                              ;   in Loop: Header=BB1_577 Depth=2
	v_cmp_lt_i32_e64 s0, 2, v44
	s_mov_b32 s3, 0
                                        ; implicit-def: $vgpr16
	s_and_saveexec_b32 s10, s0
	s_delay_alu instid0(SALU_CYCLE_1)
	s_xor_b32 s0, exec_lo, s10
	s_cbranch_execnz .LBB1_672
; %bb.586:                              ;   in Loop: Header=BB1_577 Depth=2
	s_and_not1_saveexec_b32 s10, s0
	s_cbranch_execnz .LBB1_673
.LBB1_587:                              ;   in Loop: Header=BB1_577 Depth=2
	s_or_b32 exec_lo, exec_lo, s10
	v_mov_b32_e32 v20, 0
	s_and_saveexec_b32 s0, s3
	s_cbranch_execz .LBB1_589
.LBB1_588:                              ;   in Loop: Header=BB1_577 Depth=2
	global_load_u8 v20, v[8:9], off offset:5
	s_wait_loadcnt 0x0
	v_lshl_or_b32 v20, v20, 8, v16
.LBB1_589:                              ;   in Loop: Header=BB1_577 Depth=2
	s_wait_xcnt 0x0
	s_or_b32 exec_lo, exec_lo, s0
	global_load_u8 v16, v[6:7], off
	v_lshrrev_b32_e32 v17, v17, v13
	v_add_nc_u64_e32 v[8:9], v[8:9], v[44:45]
	s_mov_b32 s3, 0
	s_wait_loadcnt 0x0
	v_or_b32_e32 v16, v20, v16
	s_delay_alu instid0(VALU_DEP_1) | instskip(NEXT) | instid1(VALU_DEP_1)
	v_lshl_or_b32 v16, v16, v18, v17
	v_mul_lo_u32 v16, 0x5bd1e995, v16
	s_delay_alu instid0(VALU_DEP_1) | instskip(NEXT) | instid1(VALU_DEP_1)
	v_lshrrev_b32_e32 v17, 24, v16
	v_xor_b32_e32 v16, v17, v16
	v_mul_lo_u32 v17, 0x5bd1e995, v14
	s_delay_alu instid0(VALU_DEP_2) | instskip(NEXT) | instid1(VALU_DEP_1)
	v_mul_lo_u32 v16, 0x5bd1e995, v16
	v_dual_sub_nc_u32 v18, v19, v44 :: v_dual_bitop2_b32 v16, v16, v17 bitop3:0x14
	s_delay_alu instid0(VALU_DEP_1) | instskip(SKIP_2) | instid1(SALU_CYCLE_1)
	v_cmp_lt_i32_e64 s0, 1, v18
                                        ; implicit-def: $vgpr17
	s_wait_xcnt 0x0
	s_and_saveexec_b32 s10, s0
	s_xor_b32 s0, exec_lo, s10
	s_cbranch_execnz .LBB1_674
; %bb.590:                              ;   in Loop: Header=BB1_577 Depth=2
	s_and_not1_saveexec_b32 s10, s0
	s_cbranch_execnz .LBB1_675
.LBB1_591:                              ;   in Loop: Header=BB1_577 Depth=2
	s_or_b32 exec_lo, exec_lo, s10
	s_and_saveexec_b32 s0, s3
	s_cbranch_execz .LBB1_593
.LBB1_592:                              ;   in Loop: Header=BB1_577 Depth=2
	global_load_u8 v8, v[8:9], off offset:4
	s_wait_loadcnt 0x0
	v_xor_b32_e32 v8, v17, v8
	s_delay_alu instid0(VALU_DEP_1)
	v_mul_lo_u32 v16, 0x5bd1e995, v8
.LBB1_593:                              ;   in Loop: Header=BB1_577 Depth=2
	s_or_b32 exec_lo, exec_lo, s0
                                        ; implicit-def: $vgpr17
                                        ; implicit-def: $vgpr18
                                        ; implicit-def: $vgpr8_vgpr9
.LBB1_594:                              ;   in Loop: Header=BB1_577 Depth=2
	s_and_not1_saveexec_b32 s2, s2
	s_cbranch_execz .LBB1_663
; %bb.595:                              ;   in Loop: Header=BB1_577 Depth=2
	v_cmp_lt_i32_e64 s0, 5, v15
	s_mov_b32 s3, 0
                                        ; implicit-def: $vgpr16
	s_and_saveexec_b32 s10, s0
	s_delay_alu instid0(SALU_CYCLE_1)
	s_xor_b32 s0, exec_lo, s10
	s_cbranch_execnz .LBB1_676
; %bb.596:                              ;   in Loop: Header=BB1_577 Depth=2
	s_and_not1_saveexec_b32 s10, s0
	s_cbranch_execnz .LBB1_677
.LBB1_597:                              ;   in Loop: Header=BB1_577 Depth=2
	s_or_b32 exec_lo, exec_lo, s10
	v_mov_b32_e32 v8, 0
	s_and_saveexec_b32 s0, s3
	s_cbranch_execz .LBB1_599
.LBB1_598:                              ;   in Loop: Header=BB1_577 Depth=2
	global_load_u8 v6, v[6:7], off
	s_wait_loadcnt 0x0
	v_or_b32_e32 v8, v16, v6
.LBB1_599:                              ;   in Loop: Header=BB1_577 Depth=2
	s_wait_xcnt 0x0
	s_or_b32 exec_lo, exec_lo, s0
	s_delay_alu instid0(VALU_DEP_1) | instskip(NEXT) | instid1(VALU_DEP_1)
	v_dual_lshrrev_b32 v6, v17, v13 :: v_dual_lshlrev_b32 v7, v18, v8
	v_bitop3_b32 v6, v7, v14, v6 bitop3:0x36
	s_delay_alu instid0(VALU_DEP_1)
	v_mul_lo_u32 v16, 0x5bd1e995, v6
	s_or_b32 exec_lo, exec_lo, s2
.LBB1_600:                              ;   in Loop: Header=BB1_577 Depth=2
	s_and_not1_saveexec_b32 s1, s1
	s_cbranch_execz .LBB1_608
.LBB1_601:                              ;   in Loop: Header=BB1_577 Depth=2
	v_mov_b64_e32 v[6:7], v[2:3]
	v_dual_mov_b32 v8, v11 :: v_dual_mov_b32 v16, v10
	s_mov_b32 s2, 0
.LBB1_602:                              ;   Parent Loop BB1_13 Depth=1
                                        ;     Parent Loop BB1_577 Depth=2
                                        ; =>    This Inner Loop Header: Depth=3
	global_load_b32 v9, v[6:7], off
	s_wait_xcnt 0x0
	v_add_nc_u64_e32 v[6:7], 4, v[6:7]
	v_add_nc_u32_e32 v8, -4, v8
	s_delay_alu instid0(VALU_DEP_1) | instskip(SKIP_3) | instid1(VALU_DEP_1)
	v_cmp_gt_u32_e64 s0, 8, v8
	s_or_b32 s2, s0, s2
	s_wait_loadcnt 0x0
	v_mul_lo_u32 v9, 0x5bd1e995, v9
	v_lshrrev_b32_e32 v13, 24, v9
	s_delay_alu instid0(VALU_DEP_1) | instskip(SKIP_1) | instid1(VALU_DEP_2)
	v_xor_b32_e32 v9, v13, v9
	v_mul_lo_u32 v13, 0x5bd1e995, v16
	v_mul_lo_u32 v9, 0x5bd1e995, v9
	s_delay_alu instid0(VALU_DEP_1)
	v_xor_b32_e32 v16, v9, v13
	s_and_not1_b32 exec_lo, exec_lo, s2
	s_cbranch_execnz .LBB1_602
; %bb.603:                              ;   in Loop: Header=BB1_577 Depth=2
	s_or_b32 exec_lo, exec_lo, s2
	s_mov_b32 s2, 0
	s_mov_b32 s3, exec_lo
                                        ; implicit-def: $vgpr9
	v_cmpx_lt_i32_e32 5, v8
	s_xor_b32 s3, exec_lo, s3
	s_cbranch_execnz .LBB1_664
; %bb.604:                              ;   in Loop: Header=BB1_577 Depth=2
	s_and_not1_saveexec_b32 s3, s3
	s_cbranch_execnz .LBB1_667
.LBB1_605:                              ;   in Loop: Header=BB1_577 Depth=2
	s_or_b32 exec_lo, exec_lo, s3
	s_and_saveexec_b32 s0, s2
	s_cbranch_execz .LBB1_607
.LBB1_606:                              ;   in Loop: Header=BB1_577 Depth=2
	global_load_u8 v6, v[6:7], off
	s_wait_loadcnt 0x0
	v_xor_b32_e32 v6, v9, v6
	s_delay_alu instid0(VALU_DEP_1)
	v_mul_lo_u32 v16, 0x5bd1e995, v6
.LBB1_607:                              ;   in Loop: Header=BB1_577 Depth=2
	s_or_b32 exec_lo, exec_lo, s0
.LBB1_608:                              ;   in Loop: Header=BB1_577 Depth=2
	s_delay_alu instid0(SALU_CYCLE_1) | instskip(NEXT) | instid1(VALU_DEP_1)
	s_or_b32 exec_lo, exec_lo, s1
	v_lshrrev_b32_e32 v6, 13, v16
	s_mov_b32 s3, -1
	s_mov_b32 s1, exec_lo
	s_delay_alu instid0(VALU_DEP_1) | instskip(NEXT) | instid1(VALU_DEP_1)
	v_xor_b32_e32 v6, v6, v16
	v_mul_lo_u32 v6, 0x5bd1e995, v6
	s_delay_alu instid0(VALU_DEP_1) | instskip(NEXT) | instid1(VALU_DEP_1)
	v_lshrrev_b32_e32 v7, 15, v6
	v_dual_mov_b32 v7, v45 :: v_dual_bitop2_b32 v6, v7, v6 bitop3:0x14
	s_delay_alu instid0(VALU_DEP_1) | instskip(NEXT) | instid1(VALU_DEP_1)
	v_mul_u64_e32 v[8:9], s[56:57], v[6:7]
	v_mul_lo_u32 v7, v9, s52
	s_delay_alu instid0(VALU_DEP_1) | instskip(NEXT) | instid1(VALU_DEP_1)
	v_sub_nc_u32_e32 v6, v6, v7
	v_subrev_nc_u32_e32 v7, s52, v6
	v_cmp_le_u32_e64 s0, s52, v6
	s_delay_alu instid0(VALU_DEP_1) | instskip(NEXT) | instid1(VALU_DEP_1)
	v_cndmask_b32_e64 v6, v6, v7, s0
	v_subrev_nc_u32_e32 v7, s52, v6
	v_cmp_le_u32_e64 s0, s52, v6
	s_delay_alu instid0(VALU_DEP_1) | instskip(NEXT) | instid1(VALU_DEP_1)
	v_cndmask_b32_e64 v8, v6, v7, s0
	v_mad_nc_u64_u32 v[6:7], v8, 24, v[64:65]
	global_load_b32 v9, v[6:7], off offset:8
	s_wait_loadcnt 0x0
	v_cmpx_ne_u32_e32 -1, v9
	s_cbranch_execz .LBB1_620
; %bb.609:                              ;   in Loop: Header=BB1_577 Depth=2
	s_mov_b32 s10, 0
                                        ; implicit-def: $sgpr11
	s_branch .LBB1_611
.LBB1_610:                              ;   in Loop: Header=BB1_611 Depth=3
	s_wait_xcnt 0x0
	s_or_b32 exec_lo, exec_lo, s12
	s_xor_b32 s0, s3, -1
	s_and_b32 s2, exec_lo, s2
	s_delay_alu instid0(SALU_CYCLE_1) | instskip(SKIP_2) | instid1(SALU_CYCLE_1)
	s_or_b32 s10, s2, s10
	s_and_not1_b32 s2, s11, exec_lo
	s_and_b32 s0, s0, exec_lo
	s_or_b32 s11, s2, s0
	s_and_not1_b32 exec_lo, exec_lo, s10
	s_cbranch_execz .LBB1_619
.LBB1_611:                              ;   Parent Loop BB1_13 Depth=1
                                        ;     Parent Loop BB1_577 Depth=2
                                        ; =>    This Loop Header: Depth=3
                                        ;         Child Loop BB1_613 Depth 4
	global_load_b64 v[6:7], v[6:7], off
	s_mov_b64 s[2:3], 0
	s_mov_b32 s13, 0
                                        ; implicit-def: $sgpr12
                                        ; implicit-def: $sgpr15
                                        ; implicit-def: $sgpr14
	s_branch .LBB1_613
.LBB1_612:                              ;   in Loop: Header=BB1_613 Depth=4
	s_or_b32 exec_lo, exec_lo, s16
	s_xor_b32 s0, s14, -1
	s_and_b32 s16, exec_lo, s15
	s_delay_alu instid0(SALU_CYCLE_1) | instskip(SKIP_2) | instid1(SALU_CYCLE_1)
	s_or_b32 s13, s16, s13
	s_and_not1_b32 s12, s12, exec_lo
	s_and_b32 s0, s0, exec_lo
	s_or_b32 s12, s12, s0
	s_and_not1_b32 exec_lo, exec_lo, s13
	s_cbranch_execz .LBB1_615
.LBB1_613:                              ;   Parent Loop BB1_13 Depth=1
                                        ;     Parent Loop BB1_577 Depth=2
                                        ;       Parent Loop BB1_611 Depth=3
                                        ; =>      This Inner Loop Header: Depth=4
	s_wait_loadcnt 0x0
	v_add_nc_u64_e32 v[14:15], s[2:3], v[6:7]
	v_add_nc_u64_e32 v[16:17], s[2:3], v[2:3]
	s_or_b32 s14, s14, exec_lo
	s_or_b32 s15, s15, exec_lo
	s_mov_b32 s16, exec_lo
	flat_load_u8 v13, v[14:15]
	global_load_u8 v14, v[16:17], off
	s_wait_loadcnt_dscnt 0x0
	v_cmpx_eq_u16_e64 v13, v14
	s_cbranch_execz .LBB1_612
; %bb.614:                              ;   in Loop: Header=BB1_613 Depth=4
	s_add_nc_u64 s[2:3], s[2:3], 1
	s_and_not1_b32 s15, s15, exec_lo
	v_cmp_eq_u32_e64 s0, s2, v4
	s_and_not1_b32 s14, s14, exec_lo
	s_and_b32 s0, s0, exec_lo
	s_delay_alu instid0(SALU_CYCLE_1)
	s_or_b32 s15, s15, s0
	s_branch .LBB1_612
.LBB1_615:                              ;   in Loop: Header=BB1_611 Depth=3
	s_or_b32 exec_lo, exec_lo, s13
	s_mov_b32 s2, -1
	s_mov_b32 s0, -1
	s_and_saveexec_b32 s3, s12
	s_delay_alu instid0(SALU_CYCLE_1)
	s_xor_b32 s3, exec_lo, s3
; %bb.616:                              ;   in Loop: Header=BB1_611 Depth=3
	v_cmp_ne_u32_e64 s0, v9, v4
	s_or_not1_b32 s0, s0, exec_lo
; %bb.617:                              ;   in Loop: Header=BB1_611 Depth=3
	s_or_b32 exec_lo, exec_lo, s3
	s_mov_b32 s3, -1
                                        ; implicit-def: $vgpr6_vgpr7
                                        ; implicit-def: $vgpr9
	s_and_saveexec_b32 s12, s0
	s_cbranch_execz .LBB1_610
; %bb.618:                              ;   in Loop: Header=BB1_611 Depth=3
	v_add_nc_u32_e32 v6, 1, v8
	s_xor_b32 s3, exec_lo, -1
	s_delay_alu instid0(VALU_DEP_1) | instskip(NEXT) | instid1(VALU_DEP_1)
	v_cmp_ne_u32_e64 s0, s52, v6
	v_cndmask_b32_e64 v8, 0, v6, s0
	s_delay_alu instid0(VALU_DEP_1)
	v_mad_nc_u64_u32 v[6:7], v8, 24, v[64:65]
	global_load_b32 v9, v[6:7], off offset:8
	s_wait_loadcnt 0x0
	v_cmp_eq_u32_e64 s0, -1, v9
	s_or_not1_b32 s2, s0, exec_lo
	s_branch .LBB1_610
.LBB1_619:                              ;   in Loop: Header=BB1_577 Depth=2
	s_or_b32 exec_lo, exec_lo, s10
	s_delay_alu instid0(SALU_CYCLE_1)
	s_or_not1_b32 s3, s11, exec_lo
.LBB1_620:                              ;   in Loop: Header=BB1_577 Depth=2
	s_or_b32 exec_lo, exec_lo, s1
	v_mov_b32_e32 v14, 0x52
	s_mov_b32 s0, 0
	s_and_saveexec_b32 s2, s3
	s_cbranch_execz .LBB1_576
; %bb.621:                              ;   in Loop: Header=BB1_577 Depth=2
	s_clause 0x1
	global_store_b96 v[6:7], v[2:4], off
	global_store_b8 v[6:7], v98, off offset:16
                                        ; implicit-def: $vgpr16
	s_wait_xcnt 0x0
	s_and_saveexec_b32 s0, vcc_lo
	s_delay_alu instid0(SALU_CYCLE_1)
	s_xor_b32 s0, exec_lo, s0
	s_cbranch_execz .LBB1_644
; %bb.622:                              ;   in Loop: Header=BB1_577 Depth=2
	v_mov_b32_e32 v6, 0
	s_mov_b32 s1, exec_lo
	v_cmpx_gt_i32_e32 3, v44
	s_cbranch_execz .LBB1_626
; %bb.623:                              ;   in Loop: Header=BB1_577 Depth=2
	v_mov_b32_e32 v6, 0
	s_mov_b32 s3, exec_lo
	v_cmpx_ne_u32_e32 2, v44
	s_cbranch_execz .LBB1_625
; %bb.624:                              ;   in Loop: Header=BB1_577 Depth=2
	global_load_u8 v6, v[2:3], off offset:2
	s_wait_loadcnt 0x0
	v_lshlrev_b32_e32 v6, 16, v6
.LBB1_625:                              ;   in Loop: Header=BB1_577 Depth=2
	s_wait_xcnt 0x0
	s_or_b32 exec_lo, exec_lo, s3
	global_load_u8 v7, v[2:3], off offset:1
	s_wait_loadcnt 0x0
	v_lshl_or_b32 v6, v7, 8, v6
.LBB1_626:                              ;   in Loop: Header=BB1_577 Depth=2
	s_wait_xcnt 0x0
	s_or_b32 exec_lo, exec_lo, s1
	global_load_u8 v7, v[2:3], off
	v_dual_mov_b32 v9, v45 :: v_dual_sub_nc_u32 v8, 4, v44
	v_lshlrev_b32_e32 v17, 3, v44
	s_mov_b32 s1, 0
	s_delay_alu instid0(VALU_DEP_2) | instskip(SKIP_3) | instid1(VALU_DEP_2)
	v_dual_mov_b32 v14, v10 :: v_dual_lshlrev_b32 v18, 3, v8
	s_wait_loadcnt 0x0
	v_or_b32_e32 v13, v6, v7
	v_add_nc_u64_e32 v[6:7], v[2:3], v[8:9]
	v_dual_add_nc_u32 v15, v4, v44 :: v_dual_lshlrev_b32 v8, v17, v13
.LBB1_627:                              ;   Parent Loop BB1_13 Depth=1
                                        ;     Parent Loop BB1_577 Depth=2
                                        ; =>    This Inner Loop Header: Depth=3
	global_load_b32 v13, v[6:7], off
	v_dual_lshrrev_b32 v8, v17, v8 :: v_dual_add_nc_u32 v15, -4, v15
	s_wait_xcnt 0x0
	v_add_nc_u64_e32 v[6:7], 4, v[6:7]
	s_delay_alu instid0(VALU_DEP_2) | instskip(SKIP_3) | instid1(VALU_DEP_1)
	v_cmp_gt_u32_e32 vcc_lo, 8, v15
	s_or_b32 s1, vcc_lo, s1
	s_wait_loadcnt 0x0
	v_lshl_or_b32 v8, v13, v18, v8
	v_mul_lo_u32 v8, 0x5bd1e995, v8
	s_delay_alu instid0(VALU_DEP_1) | instskip(NEXT) | instid1(VALU_DEP_1)
	v_lshrrev_b32_e32 v9, 24, v8
	v_xor_b32_e32 v8, v9, v8
	v_mul_lo_u32 v9, 0x5bd1e995, v14
	s_delay_alu instid0(VALU_DEP_2) | instskip(NEXT) | instid1(VALU_DEP_1)
	v_mul_lo_u32 v14, 0x5bd1e995, v8
	v_dual_mov_b32 v8, v13 :: v_dual_bitop2_b32 v14, v14, v9 bitop3:0x14
	s_and_not1_b32 exec_lo, exec_lo, s1
	s_cbranch_execnz .LBB1_627
; %bb.628:                              ;   in Loop: Header=BB1_577 Depth=2
	s_or_b32 exec_lo, exec_lo, s1
	v_add_nc_u64_e32 v[8:9], -4, v[6:7]
	v_add_nc_u32_e32 v19, -4, v15
	s_mov_b32 s1, exec_lo
                                        ; implicit-def: $vgpr16
	s_delay_alu instid0(VALU_DEP_1)
	v_cmpx_ge_u32_e64 v19, v44
	s_xor_b32 s1, exec_lo, s1
	s_cbranch_execz .LBB1_638
; %bb.629:                              ;   in Loop: Header=BB1_577 Depth=2
	s_mov_b32 s3, 0
	s_mov_b32 s10, exec_lo
                                        ; implicit-def: $vgpr16
	v_cmpx_lt_i32_e32 2, v44
	s_xor_b32 s10, exec_lo, s10
	s_cbranch_execnz .LBB1_683
; %bb.630:                              ;   in Loop: Header=BB1_577 Depth=2
	s_and_not1_saveexec_b32 s10, s10
	s_cbranch_execnz .LBB1_684
.LBB1_631:                              ;   in Loop: Header=BB1_577 Depth=2
	s_or_b32 exec_lo, exec_lo, s10
	v_mov_b32_e32 v20, 0
	s_and_saveexec_b32 s10, s3
	s_cbranch_execz .LBB1_633
.LBB1_632:                              ;   in Loop: Header=BB1_577 Depth=2
	global_load_u8 v20, v[8:9], off offset:5
	s_wait_loadcnt 0x0
	v_lshl_or_b32 v20, v20, 8, v16
.LBB1_633:                              ;   in Loop: Header=BB1_577 Depth=2
	s_wait_xcnt 0x0
	s_or_b32 exec_lo, exec_lo, s10
	global_load_u8 v16, v[6:7], off
	v_lshrrev_b32_e32 v17, v17, v13
	v_add_nc_u64_e32 v[8:9], v[8:9], v[44:45]
	s_mov_b32 s3, 0
	s_mov_b32 s10, exec_lo
	s_wait_loadcnt 0x0
	v_or_b32_e32 v16, v20, v16
	s_delay_alu instid0(VALU_DEP_1) | instskip(NEXT) | instid1(VALU_DEP_1)
	v_lshl_or_b32 v16, v16, v18, v17
	v_mul_lo_u32 v16, 0x5bd1e995, v16
	s_delay_alu instid0(VALU_DEP_1) | instskip(NEXT) | instid1(VALU_DEP_1)
	v_lshrrev_b32_e32 v17, 24, v16
	v_xor_b32_e32 v16, v17, v16
	v_mul_lo_u32 v17, 0x5bd1e995, v14
	s_delay_alu instid0(VALU_DEP_2) | instskip(NEXT) | instid1(VALU_DEP_1)
	v_mul_lo_u32 v16, 0x5bd1e995, v16
	v_dual_sub_nc_u32 v18, v19, v44 :: v_dual_bitop2_b32 v16, v16, v17 bitop3:0x14
                                        ; implicit-def: $vgpr17
	s_wait_xcnt 0x0
	s_delay_alu instid0(VALU_DEP_1)
	v_cmpx_lt_i32_e32 1, v18
	s_xor_b32 s10, exec_lo, s10
	s_cbranch_execnz .LBB1_685
; %bb.634:                              ;   in Loop: Header=BB1_577 Depth=2
	s_and_not1_saveexec_b32 s10, s10
	s_cbranch_execnz .LBB1_688
.LBB1_635:                              ;   in Loop: Header=BB1_577 Depth=2
	s_or_b32 exec_lo, exec_lo, s10
	s_and_saveexec_b32 s10, s3
	s_cbranch_execz .LBB1_637
.LBB1_636:                              ;   in Loop: Header=BB1_577 Depth=2
	global_load_u8 v8, v[8:9], off offset:4
	s_wait_loadcnt 0x0
	v_xor_b32_e32 v8, v17, v8
	s_delay_alu instid0(VALU_DEP_1)
	v_mul_lo_u32 v16, 0x5bd1e995, v8
.LBB1_637:                              ;   in Loop: Header=BB1_577 Depth=2
	s_or_b32 exec_lo, exec_lo, s10
                                        ; implicit-def: $vgpr17
                                        ; implicit-def: $vgpr18
                                        ; implicit-def: $vgpr8_vgpr9
.LBB1_638:                              ;   in Loop: Header=BB1_577 Depth=2
	s_and_not1_saveexec_b32 s1, s1
	s_cbranch_execz .LBB1_678
; %bb.639:                              ;   in Loop: Header=BB1_577 Depth=2
	s_mov_b32 s3, 0
	s_mov_b32 s10, exec_lo
                                        ; implicit-def: $vgpr16
	v_cmpx_lt_i32_e32 5, v15
	s_xor_b32 s10, exec_lo, s10
	s_cbranch_execnz .LBB1_689
; %bb.640:                              ;   in Loop: Header=BB1_577 Depth=2
	s_and_not1_saveexec_b32 s10, s10
	s_cbranch_execnz .LBB1_690
.LBB1_641:                              ;   in Loop: Header=BB1_577 Depth=2
	s_or_b32 exec_lo, exec_lo, s10
	v_mov_b32_e32 v8, 0
	s_and_saveexec_b32 s10, s3
	s_cbranch_execz .LBB1_643
.LBB1_642:                              ;   in Loop: Header=BB1_577 Depth=2
	global_load_u8 v6, v[6:7], off
	s_wait_loadcnt 0x0
	v_or_b32_e32 v8, v16, v6
.LBB1_643:                              ;   in Loop: Header=BB1_577 Depth=2
	s_wait_xcnt 0x0
	s_or_b32 exec_lo, exec_lo, s10
	s_delay_alu instid0(VALU_DEP_1) | instskip(NEXT) | instid1(VALU_DEP_1)
	v_dual_lshrrev_b32 v6, v17, v13 :: v_dual_lshlrev_b32 v7, v18, v8
	v_bitop3_b32 v6, v7, v14, v6 bitop3:0x36
	s_delay_alu instid0(VALU_DEP_1)
	v_mul_lo_u32 v16, 0x5bd1e995, v6
	s_or_b32 exec_lo, exec_lo, s1
.LBB1_644:                              ;   in Loop: Header=BB1_577 Depth=2
	s_and_not1_saveexec_b32 s0, s0
	s_cbranch_execz .LBB1_652
.LBB1_645:                              ;   in Loop: Header=BB1_577 Depth=2
	v_mov_b64_e32 v[6:7], v[2:3]
	v_dual_mov_b32 v8, v11 :: v_dual_mov_b32 v16, v10
	s_mov_b32 s1, 0
.LBB1_646:                              ;   Parent Loop BB1_13 Depth=1
                                        ;     Parent Loop BB1_577 Depth=2
                                        ; =>    This Inner Loop Header: Depth=3
	global_load_b32 v9, v[6:7], off
	s_wait_xcnt 0x0
	v_add_nc_u64_e32 v[6:7], 4, v[6:7]
	v_add_nc_u32_e32 v8, -4, v8
	s_delay_alu instid0(VALU_DEP_1) | instskip(SKIP_3) | instid1(VALU_DEP_1)
	v_cmp_gt_u32_e32 vcc_lo, 8, v8
	s_or_b32 s1, vcc_lo, s1
	s_wait_loadcnt 0x0
	v_mul_lo_u32 v9, 0x5bd1e995, v9
	v_lshrrev_b32_e32 v13, 24, v9
	s_delay_alu instid0(VALU_DEP_1) | instskip(SKIP_1) | instid1(VALU_DEP_2)
	v_xor_b32_e32 v9, v13, v9
	v_mul_lo_u32 v13, 0x5bd1e995, v16
	v_mul_lo_u32 v9, 0x5bd1e995, v9
	s_delay_alu instid0(VALU_DEP_1)
	v_xor_b32_e32 v16, v9, v13
	s_and_not1_b32 exec_lo, exec_lo, s1
	s_cbranch_execnz .LBB1_646
; %bb.647:                              ;   in Loop: Header=BB1_577 Depth=2
	s_or_b32 exec_lo, exec_lo, s1
	s_mov_b32 s1, 0
	s_mov_b32 s3, exec_lo
                                        ; implicit-def: $vgpr9
	v_cmpx_lt_i32_e32 5, v8
	s_xor_b32 s3, exec_lo, s3
	s_cbranch_execnz .LBB1_679
; %bb.648:                              ;   in Loop: Header=BB1_577 Depth=2
	s_and_not1_saveexec_b32 s3, s3
	s_cbranch_execnz .LBB1_682
.LBB1_649:                              ;   in Loop: Header=BB1_577 Depth=2
	s_or_b32 exec_lo, exec_lo, s3
	s_and_saveexec_b32 s3, s1
	s_cbranch_execz .LBB1_651
.LBB1_650:                              ;   in Loop: Header=BB1_577 Depth=2
	global_load_u8 v6, v[6:7], off
	s_wait_loadcnt 0x0
	v_xor_b32_e32 v6, v9, v6
	s_delay_alu instid0(VALU_DEP_1)
	v_mul_lo_u32 v16, 0x5bd1e995, v6
.LBB1_651:                              ;   in Loop: Header=BB1_577 Depth=2
	s_or_b32 exec_lo, exec_lo, s3
.LBB1_652:                              ;   in Loop: Header=BB1_577 Depth=2
	s_delay_alu instid0(SALU_CYCLE_1) | instskip(NEXT) | instid1(VALU_DEP_1)
	s_or_b32 exec_lo, exec_lo, s0
	v_lshrrev_b32_e32 v6, 13, v16
	s_mov_b32 s0, 0
	s_mov_b32 s3, exec_lo
	v_mov_b32_e32 v14, 0x58
	s_delay_alu instid0(VALU_DEP_2) | instskip(NEXT) | instid1(VALU_DEP_1)
	v_xor_b32_e32 v6, v6, v16
	v_mul_lo_u32 v6, 0x5bd1e995, v6
	s_delay_alu instid0(VALU_DEP_1) | instskip(NEXT) | instid1(VALU_DEP_1)
	v_lshrrev_b32_e32 v7, 15, v6
	v_xor_b32_e32 v44, v7, v6
	s_delay_alu instid0(VALU_DEP_1) | instskip(NEXT) | instid1(VALU_DEP_1)
	v_mul_u64_e32 v[6:7], v[44:45], v[84:85]
	v_mul_lo_u32 v6, v7, v42
	s_delay_alu instid0(VALU_DEP_1) | instskip(NEXT) | instid1(VALU_DEP_1)
	v_sub_nc_u32_e32 v6, v44, v6
	v_sub_nc_u32_e32 v7, v6, v42
	v_cmp_ge_u32_e32 vcc_lo, v6, v42
	s_delay_alu instid0(VALU_DEP_2) | instskip(NEXT) | instid1(VALU_DEP_1)
	v_cndmask_b32_e32 v6, v6, v7, vcc_lo
	v_sub_nc_u32_e32 v7, v6, v42
	v_cmp_ge_u32_e32 vcc_lo, v6, v42
	s_delay_alu instid0(VALU_DEP_2) | instskip(NEXT) | instid1(VALU_DEP_1)
	v_cndmask_b32_e32 v13, v6, v7, vcc_lo
	v_mad_nc_u64_u32 v[8:9], v13, 56, v[40:41]
	global_load_b32 v15, v[8:9], off offset:8
	s_wait_loadcnt 0x0
	v_cmpx_ne_u32_e32 -1, v15
	s_cbranch_execz .LBB1_575
; %bb.653:                              ;   in Loop: Header=BB1_577 Depth=2
	s_mov_b32 s11, 0
                                        ; implicit-def: $sgpr10
                                        ; implicit-def: $sgpr12
	s_branch .LBB1_655
.LBB1_654:                              ;   in Loop: Header=BB1_655 Depth=3
	s_wait_xcnt 0x0
	s_or_b32 exec_lo, exec_lo, s1
	s_delay_alu instid0(SALU_CYCLE_1) | instskip(NEXT) | instid1(SALU_CYCLE_1)
	s_and_b32 s0, exec_lo, s0
	s_or_b32 s11, s0, s11
	s_and_not1_b32 s0, s10, exec_lo
	s_and_b32 s1, s12, exec_lo
	s_delay_alu instid0(SALU_CYCLE_1)
	s_or_b32 s10, s0, s1
	s_and_not1_b32 exec_lo, exec_lo, s11
	s_cbranch_execz .LBB1_668
.LBB1_655:                              ;   Parent Loop BB1_13 Depth=1
                                        ;     Parent Loop BB1_577 Depth=2
                                        ; =>    This Loop Header: Depth=3
                                        ;         Child Loop BB1_657 Depth 4
	v_mov_b64_e32 v[6:7], v[8:9]
	global_load_b64 v[8:9], v[8:9], off
	s_mov_b64 s[0:1], 0
	s_mov_b32 s14, 0
                                        ; implicit-def: $sgpr13
                                        ; implicit-def: $sgpr16
                                        ; implicit-def: $sgpr15
	s_branch .LBB1_657
.LBB1_656:                              ;   in Loop: Header=BB1_657 Depth=4
	s_or_b32 exec_lo, exec_lo, s17
	s_xor_b32 s17, s15, -1
	s_and_b32 s18, exec_lo, s16
	s_delay_alu instid0(SALU_CYCLE_1) | instskip(SKIP_2) | instid1(SALU_CYCLE_1)
	s_or_b32 s14, s18, s14
	s_and_not1_b32 s13, s13, exec_lo
	s_and_b32 s17, s17, exec_lo
	s_or_b32 s13, s13, s17
	s_and_not1_b32 exec_lo, exec_lo, s14
	s_cbranch_execz .LBB1_659
.LBB1_657:                              ;   Parent Loop BB1_13 Depth=1
                                        ;     Parent Loop BB1_577 Depth=2
                                        ;       Parent Loop BB1_655 Depth=3
                                        ; =>      This Inner Loop Header: Depth=4
	s_wait_loadcnt 0x0
	v_add_nc_u64_e32 v[16:17], s[0:1], v[8:9]
	v_add_nc_u64_e32 v[18:19], s[0:1], v[2:3]
	s_or_b32 s15, s15, exec_lo
	s_or_b32 s16, s16, exec_lo
	s_mov_b32 s17, exec_lo
	flat_load_u8 v14, v[16:17]
	global_load_u8 v16, v[18:19], off
	s_wait_loadcnt_dscnt 0x0
	v_cmpx_eq_u16_e64 v14, v16
	s_cbranch_execz .LBB1_656
; %bb.658:                              ;   in Loop: Header=BB1_657 Depth=4
	s_add_nc_u64 s[0:1], s[0:1], 1
	s_and_not1_b32 s16, s16, exec_lo
	v_cmp_eq_u32_e32 vcc_lo, s0, v4
	s_and_not1_b32 s15, s15, exec_lo
	s_and_b32 s18, vcc_lo, exec_lo
	s_delay_alu instid0(SALU_CYCLE_1)
	s_or_b32 s16, s16, s18
	s_branch .LBB1_656
.LBB1_659:                              ;   in Loop: Header=BB1_655 Depth=3
	s_or_b32 exec_lo, exec_lo, s14
	s_mov_b32 s0, -1
	s_mov_b32 s14, -1
	s_and_saveexec_b32 s1, s13
	s_delay_alu instid0(SALU_CYCLE_1)
	s_xor_b32 s1, exec_lo, s1
; %bb.660:                              ;   in Loop: Header=BB1_655 Depth=3
	v_cmp_ne_u32_e32 vcc_lo, v15, v4
	s_or_not1_b32 s14, vcc_lo, exec_lo
; %bb.661:                              ;   in Loop: Header=BB1_655 Depth=3
	s_or_b32 exec_lo, exec_lo, s1
	s_delay_alu instid0(SALU_CYCLE_1)
	s_or_b32 s12, s12, exec_lo
                                        ; implicit-def: $vgpr8_vgpr9
                                        ; implicit-def: $vgpr15
	s_and_saveexec_b32 s1, s14
	s_cbranch_execz .LBB1_654
; %bb.662:                              ;   in Loop: Header=BB1_655 Depth=3
	v_add_nc_u32_e32 v8, 1, v13
	s_and_not1_b32 s12, s12, exec_lo
	s_delay_alu instid0(VALU_DEP_1) | instskip(SKIP_1) | instid1(VALU_DEP_1)
	v_cmp_ne_u32_e32 vcc_lo, v8, v42
	v_cndmask_b32_e32 v13, 0, v8, vcc_lo
	v_mad_nc_u64_u32 v[8:9], v13, 56, v[40:41]
	global_load_b32 v15, v[8:9], off offset:8
	s_wait_loadcnt 0x0
	v_cmp_eq_u32_e32 vcc_lo, -1, v15
	s_or_not1_b32 s0, vcc_lo, exec_lo
	s_branch .LBB1_654
.LBB1_663:                              ;   in Loop: Header=BB1_577 Depth=2
	s_or_b32 exec_lo, exec_lo, s2
	s_and_not1_saveexec_b32 s1, s1
	s_cbranch_execnz .LBB1_601
	s_branch .LBB1_608
.LBB1_664:                              ;   in Loop: Header=BB1_577 Depth=2
	v_mov_b32_e32 v9, v16
	s_mov_b32 s2, exec_lo
	v_cmpx_lt_i32_e32 6, v8
	s_cbranch_execz .LBB1_666
; %bb.665:                              ;   in Loop: Header=BB1_577 Depth=2
	global_load_u8 v9, v[6:7], off offset:2
	s_wait_loadcnt 0x0
	v_lshlrev_b32_e32 v9, 16, v9
	s_delay_alu instid0(VALU_DEP_1)
	v_xor_b32_e32 v9, v9, v16
.LBB1_666:                              ;   in Loop: Header=BB1_577 Depth=2
	s_wait_xcnt 0x0
	s_or_b32 exec_lo, exec_lo, s2
	global_load_u8 v13, v[6:7], off offset:1
	s_mov_b32 s2, exec_lo
	s_wait_loadcnt 0x0
	v_lshlrev_b32_e32 v13, 8, v13
	s_delay_alu instid0(VALU_DEP_1)
	v_xor_b32_e32 v9, v13, v9
	s_wait_xcnt 0x0
	s_and_not1_saveexec_b32 s3, s3
	s_cbranch_execz .LBB1_605
.LBB1_667:                              ;   in Loop: Header=BB1_577 Depth=2
	v_cmp_eq_u32_e64 s0, 5, v8
	v_mov_b32_e32 v9, v16
	s_and_not1_b32 s2, s2, exec_lo
	s_and_b32 s0, s0, exec_lo
	s_delay_alu instid0(SALU_CYCLE_1)
	s_or_b32 s2, s2, s0
	s_or_b32 exec_lo, exec_lo, s3
	s_and_saveexec_b32 s0, s2
	s_cbranch_execnz .LBB1_606
	s_branch .LBB1_607
.LBB1_668:                              ;   in Loop: Header=BB1_577 Depth=2
	s_or_b32 exec_lo, exec_lo, s11
	v_mov_b32_e32 v14, 0x58
	s_mov_b32 s0, 0
	s_and_saveexec_b32 s1, s10
	s_delay_alu instid0(SALU_CYCLE_1)
	s_xor_b32 s10, exec_lo, s1
	s_cbranch_execz .LBB1_574
; %bb.669:                              ;   in Loop: Header=BB1_577 Depth=2
	global_load_u8 v14, v[6:7], off offset:48
	s_mov_b32 s11, 0
	s_mov_b32 s12, exec_lo
	s_wait_loadcnt 0x0
	v_cmp_ne_u16_e64 s0, 0x58, v14
	v_cmp_ne_u16_e32 vcc_lo, 0x46, v14
	s_wait_xcnt 0x0
	v_cmpx_lt_i16_e32 0x57, v14
	s_xor_b32 s12, exec_lo, s12
	s_cbranch_execnz .LBB1_691
; %bb.670:                              ;   in Loop: Header=BB1_577 Depth=2
	s_and_not1_saveexec_b32 s12, s12
	s_cbranch_execnz .LBB1_692
.LBB1_671:                              ;   in Loop: Header=BB1_577 Depth=2
	s_or_b32 exec_lo, exec_lo, s12
	s_and_saveexec_b32 s12, s11
	s_cbranch_execz .LBB1_573
	s_branch .LBB1_693
.LBB1_672:                              ;   in Loop: Header=BB1_577 Depth=2
	global_load_u8 v16, v[8:9], off offset:6
	s_mov_b32 s3, exec_lo
	s_wait_loadcnt 0x0
	v_lshlrev_b32_e32 v16, 16, v16
	s_wait_xcnt 0x0
	s_and_not1_saveexec_b32 s10, s0
	s_cbranch_execz .LBB1_587
.LBB1_673:                              ;   in Loop: Header=BB1_577 Depth=2
	v_cmp_eq_u32_e64 s0, 2, v44
	v_mov_b32_e32 v16, 0
	s_and_not1_b32 s3, s3, exec_lo
	s_and_b32 s0, s0, exec_lo
	s_delay_alu instid0(SALU_CYCLE_1)
	s_or_b32 s3, s3, s0
	s_or_b32 exec_lo, exec_lo, s10
	v_mov_b32_e32 v20, 0
	s_and_saveexec_b32 s0, s3
	s_cbranch_execnz .LBB1_588
	s_branch .LBB1_589
.LBB1_674:                              ;   in Loop: Header=BB1_577 Depth=2
	global_load_u8 v17, v[8:9], off offset:5
	s_mov_b32 s3, exec_lo
                                        ; implicit-def: $vgpr18
	s_wait_loadcnt 0x0
	v_lshlrev_b32_e32 v17, 8, v17
	s_delay_alu instid0(VALU_DEP_1)
	v_xor_b32_e32 v17, v17, v16
	s_wait_xcnt 0x0
	s_and_not1_saveexec_b32 s10, s0
	s_cbranch_execz .LBB1_591
.LBB1_675:                              ;   in Loop: Header=BB1_577 Depth=2
	v_cmp_eq_u32_e64 s0, 1, v18
	v_mov_b32_e32 v17, v16
	s_and_not1_b32 s3, s3, exec_lo
	s_and_b32 s0, s0, exec_lo
	s_delay_alu instid0(SALU_CYCLE_1)
	s_or_b32 s3, s3, s0
	s_or_b32 exec_lo, exec_lo, s10
	s_and_saveexec_b32 s0, s3
	s_cbranch_execnz .LBB1_592
	s_branch .LBB1_593
.LBB1_676:                              ;   in Loop: Header=BB1_577 Depth=2
	global_load_u8 v8, v[8:9], off offset:5
	s_mov_b32 s3, exec_lo
	s_wait_loadcnt 0x0
	v_lshlrev_b32_e32 v16, 8, v8
	s_wait_xcnt 0x0
	s_and_not1_saveexec_b32 s10, s0
	s_cbranch_execz .LBB1_597
.LBB1_677:                              ;   in Loop: Header=BB1_577 Depth=2
	v_cmp_eq_u32_e64 s0, 5, v15
	v_mov_b32_e32 v16, 0
	s_and_not1_b32 s3, s3, exec_lo
	s_and_b32 s0, s0, exec_lo
	s_delay_alu instid0(SALU_CYCLE_1)
	s_or_b32 s3, s3, s0
	s_or_b32 exec_lo, exec_lo, s10
	v_mov_b32_e32 v8, 0
	s_and_saveexec_b32 s0, s3
	s_cbranch_execnz .LBB1_598
	s_branch .LBB1_599
.LBB1_678:                              ;   in Loop: Header=BB1_577 Depth=2
	s_or_b32 exec_lo, exec_lo, s1
	s_and_not1_saveexec_b32 s0, s0
	s_cbranch_execnz .LBB1_645
	s_branch .LBB1_652
.LBB1_679:                              ;   in Loop: Header=BB1_577 Depth=2
	v_mov_b32_e32 v9, v16
	s_mov_b32 s1, exec_lo
	v_cmpx_lt_i32_e32 6, v8
	s_cbranch_execz .LBB1_681
; %bb.680:                              ;   in Loop: Header=BB1_577 Depth=2
	global_load_u8 v9, v[6:7], off offset:2
	s_wait_loadcnt 0x0
	v_lshlrev_b32_e32 v9, 16, v9
	s_delay_alu instid0(VALU_DEP_1)
	v_xor_b32_e32 v9, v9, v16
.LBB1_681:                              ;   in Loop: Header=BB1_577 Depth=2
	s_wait_xcnt 0x0
	s_or_b32 exec_lo, exec_lo, s1
	global_load_u8 v13, v[6:7], off offset:1
	s_mov_b32 s1, exec_lo
	s_wait_loadcnt 0x0
	v_lshlrev_b32_e32 v13, 8, v13
	s_delay_alu instid0(VALU_DEP_1)
	v_xor_b32_e32 v9, v13, v9
	s_wait_xcnt 0x0
	s_and_not1_saveexec_b32 s3, s3
	s_cbranch_execz .LBB1_649
.LBB1_682:                              ;   in Loop: Header=BB1_577 Depth=2
	v_cmp_eq_u32_e32 vcc_lo, 5, v8
	v_mov_b32_e32 v9, v16
	s_and_not1_b32 s1, s1, exec_lo
	s_and_b32 s10, vcc_lo, exec_lo
	s_delay_alu instid0(SALU_CYCLE_1)
	s_or_b32 s1, s1, s10
	s_or_b32 exec_lo, exec_lo, s3
	s_and_saveexec_b32 s3, s1
	s_cbranch_execnz .LBB1_650
	s_branch .LBB1_651
.LBB1_683:                              ;   in Loop: Header=BB1_577 Depth=2
	global_load_u8 v16, v[8:9], off offset:6
	s_mov_b32 s3, exec_lo
	s_wait_loadcnt 0x0
	v_lshlrev_b32_e32 v16, 16, v16
	s_wait_xcnt 0x0
	s_and_not1_saveexec_b32 s10, s10
	s_cbranch_execz .LBB1_631
.LBB1_684:                              ;   in Loop: Header=BB1_577 Depth=2
	v_cmp_eq_u32_e32 vcc_lo, 2, v44
	v_mov_b32_e32 v16, 0
	s_and_not1_b32 s3, s3, exec_lo
	s_and_b32 s11, vcc_lo, exec_lo
	s_delay_alu instid0(SALU_CYCLE_1)
	s_or_b32 s3, s3, s11
	s_or_b32 exec_lo, exec_lo, s10
	v_mov_b32_e32 v20, 0
	s_and_saveexec_b32 s10, s3
	s_cbranch_execnz .LBB1_632
	s_branch .LBB1_633
.LBB1_685:                              ;   in Loop: Header=BB1_577 Depth=2
	s_mov_b32 s11, exec_lo
                                        ; implicit-def: $vgpr17
	v_cmpx_eq_u32_e32 2, v18
	s_cbranch_execz .LBB1_687
; %bb.686:                              ;   in Loop: Header=BB1_577 Depth=2
	global_load_u8 v17, v[8:9], off offset:5
	s_mov_b32 s3, exec_lo
	s_wait_loadcnt 0x0
	v_lshlrev_b32_e32 v17, 8, v17
	s_delay_alu instid0(VALU_DEP_1)
	v_xor_b32_e32 v17, v17, v16
.LBB1_687:                              ;   in Loop: Header=BB1_577 Depth=2
	s_wait_xcnt 0x0
	s_or_b32 exec_lo, exec_lo, s11
	s_delay_alu instid0(SALU_CYCLE_1)
	s_and_b32 s3, s3, exec_lo
                                        ; implicit-def: $vgpr18
	s_and_not1_saveexec_b32 s10, s10
	s_cbranch_execz .LBB1_635
.LBB1_688:                              ;   in Loop: Header=BB1_577 Depth=2
	v_cmp_eq_u32_e32 vcc_lo, 1, v18
	v_mov_b32_e32 v17, v16
	s_and_not1_b32 s3, s3, exec_lo
	s_and_b32 s11, vcc_lo, exec_lo
	s_delay_alu instid0(SALU_CYCLE_1)
	s_or_b32 s3, s3, s11
	s_or_b32 exec_lo, exec_lo, s10
	s_and_saveexec_b32 s10, s3
	s_cbranch_execnz .LBB1_636
	s_branch .LBB1_637
.LBB1_689:                              ;   in Loop: Header=BB1_577 Depth=2
	global_load_u8 v8, v[8:9], off offset:5
	s_mov_b32 s3, exec_lo
	s_wait_loadcnt 0x0
	v_lshlrev_b32_e32 v16, 8, v8
	s_wait_xcnt 0x0
	s_and_not1_saveexec_b32 s10, s10
	s_cbranch_execz .LBB1_641
.LBB1_690:                              ;   in Loop: Header=BB1_577 Depth=2
	v_cmp_eq_u32_e32 vcc_lo, 5, v15
	v_mov_b32_e32 v16, 0
	s_and_not1_b32 s3, s3, exec_lo
	s_and_b32 s11, vcc_lo, exec_lo
	s_delay_alu instid0(SALU_CYCLE_1)
	s_or_b32 s3, s3, s11
	s_or_b32 exec_lo, exec_lo, s10
	v_mov_b32_e32 v8, 0
	s_and_saveexec_b32 s10, s3
	s_cbranch_execnz .LBB1_642
	s_branch .LBB1_643
.LBB1_691:                              ;   in Loop: Header=BB1_577 Depth=2
	v_cmp_ne_u16_e64 s1, 0x58, v14
	s_and_b32 s11, s1, exec_lo
	s_and_not1_saveexec_b32 s12, s12
	s_cbranch_execz .LBB1_671
.LBB1_692:                              ;   in Loop: Header=BB1_577 Depth=2
	v_cmp_ne_u16_e64 s1, 0x46, v14
	s_and_not1_b32 s11, s11, exec_lo
	s_and_b32 s1, s1, exec_lo
	s_delay_alu instid0(SALU_CYCLE_1)
	s_or_b32 s11, s11, s1
	s_or_b32 exec_lo, exec_lo, s12
	s_and_saveexec_b32 s12, s11
	s_cbranch_execz .LBB1_573
.LBB1_693:                              ;   in Loop: Header=BB1_577 Depth=2
	v_add_nc_u64_e32 v[6:7], v[2:3], v[0:1]
	v_cmp_ne_u16_e64 s1, 0, v14
	v_add_nc_u64_e32 v[2:3], 1, v[2:3]
	s_delay_alu instid0(VALU_DEP_2)
	v_add_co_ci_u32_e64 v5, null, 0, v5, s1
	global_store_b8 v[6:7], v14, off
	s_wait_xcnt 0x0
	v_mov_b32_e32 v14, v12
	s_branch .LBB1_573
.LBB1_694:                              ;   in Loop: Header=BB1_13 Depth=1
	s_or_b32 exec_lo, exec_lo, s6
	v_and_b32_e32 v2, 0xff, v14
	s_delay_alu instid0(VALU_DEP_1)
	v_cmp_eq_u16_e64 s2, 0x58, v2
	s_mov_b32 s3, exec_lo
	v_cmpx_gt_i32_e64 v5, v107
	s_cbranch_execnz .LBB1_696
	s_branch .LBB1_700
.LBB1_695:                              ;   in Loop: Header=BB1_13 Depth=1
	v_mov_b32_e32 v5, 0
	s_mov_b32 s2, -1
	s_mov_b32 s3, exec_lo
	s_delay_alu instid0(VALU_DEP_1)
	v_cmpx_gt_i32_e64 v5, v107
	s_cbranch_execz .LBB1_700
.LBB1_696:                              ;   in Loop: Header=BB1_13 Depth=1
	s_mov_b32 s6, exec_lo
	v_cmpx_lt_i32_e32 0, v5
	s_cbranch_execz .LBB1_699
; %bb.697:                              ;   in Loop: Header=BB1_13 Depth=1
	v_add_nc_u64_e32 v[0:1], v[66:67], v[0:1]
	s_mov_b64 s[0:1], 0
	s_mov_b32 s7, 0
.LBB1_698:                              ;   Parent Loop BB1_13 Depth=1
                                        ; =>  This Inner Loop Header: Depth=2
	s_delay_alu instid0(VALU_DEP_1) | instskip(SKIP_4) | instid1(SALU_CYCLE_1)
	v_add_nc_u64_e32 v[2:3], s[0:1], v[0:1]
	global_load_u8 v6, v[2:3], off
	s_wait_xcnt 0x0
	v_add_nc_u64_e32 v[2:3], s[0:1], v[68:69]
	s_add_nc_u64 s[0:1], s[0:1], 1
	v_cmp_eq_u32_e32 vcc_lo, s0, v5
	s_or_b32 s7, vcc_lo, s7
	s_wait_loadcnt 0x0
	global_store_b8 v[2:3], v6, off
	s_wait_xcnt 0x0
	s_and_not1_b32 exec_lo, exec_lo, s7
	s_cbranch_execnz .LBB1_698
.LBB1_699:                              ;   in Loop: Header=BB1_13 Depth=1
	s_or_b32 exec_lo, exec_lo, s6
	v_mov_b32_e32 v107, v5
.LBB1_700:                              ;   in Loop: Header=BB1_13 Depth=1
	s_or_b32 exec_lo, exec_lo, s3
	s_xor_b32 s1, s2, -1
	s_mov_b32 s0, 0
	s_and_saveexec_b32 s2, s1
	s_delay_alu instid0(SALU_CYCLE_1)
	s_xor_b32 s1, exec_lo, s2
; %bb.701:                              ;   in Loop: Header=BB1_13 Depth=1
	v_cmp_ne_u32_e32 vcc_lo, -8, v105
                                        ; implicit-def: $vgpr105
	s_and_b32 s0, vcc_lo, exec_lo
; %bb.702:                              ;   in Loop: Header=BB1_13 Depth=1
	s_or_saveexec_b32 s1, s1
	v_dual_mov_b32 v3, -8 :: v_dual_mov_b32 v1, 8
	s_xor_b32 exec_lo, exec_lo, s1
; %bb.703:                              ;   in Loop: Header=BB1_13 Depth=1
	v_cmp_ne_u32_e32 vcc_lo, 8, v105
	v_dual_mov_b32 v3, 8 :: v_dual_mov_b32 v1, -8
	s_and_not1_b32 s0, s0, exec_lo
	s_and_b32 s2, vcc_lo, exec_lo
	s_delay_alu instid0(SALU_CYCLE_1)
	s_or_b32 s0, s0, s2
; %bb.704:                              ;   in Loop: Header=BB1_13 Depth=1
	s_or_b32 exec_lo, exec_lo, s1
	v_dual_mov_b32 v2, 11 :: v_dual_mov_b32 v0, 0
	v_mov_b32_e32 v105, v3
	s_and_saveexec_b32 s1, s0
; %bb.705:                              ;   in Loop: Header=BB1_13 Depth=1
	v_dual_mov_b32 v2, 0 :: v_dual_mov_b32 v0, v106
	v_mov_b32_e32 v105, v1
; %bb.706:                              ;   in Loop: Header=BB1_13 Depth=1
	s_or_b32 exec_lo, exec_lo, s1
	s_mov_b32 s0, -1
	s_mov_b32 s1, exec_lo
	v_cmpx_gt_i32_e32 11, v2
; %bb.707:                              ;   in Loop: Header=BB1_13 Depth=1
	v_cmp_eq_u32_e32 vcc_lo, 0, v2
	s_or_not1_b32 s0, vcc_lo, exec_lo
; %bb.708:                              ;   in Loop: Header=BB1_13 Depth=1
	s_or_b32 exec_lo, exec_lo, s1
	v_mov_b32_e32 v106, v0
	s_or_not1_b32 s0, s0, exec_lo
.LBB1_709:                              ;   in Loop: Header=BB1_13 Depth=1
	s_or_b32 exec_lo, exec_lo, s5
	s_and_saveexec_b32 s1, s0
	s_cbranch_execz .LBB1_12
; %bb.710:                              ;   in Loop: Header=BB1_13 Depth=1
	ds_bpermute_b32 v106, v45, v106
	s_mov_b32 s0, -1
	s_mov_b32 s2, exec_lo
	s_wait_dscnt 0x0
	v_cmpx_ne_u32_e32 0, v106
	s_cbranch_execz .LBB1_11
; %bb.711:                              ;   in Loop: Header=BB1_13 Depth=1
	ds_bpermute_b32 v105, v45, v105
	s_wait_dscnt 0x0
	v_add_nc_u32_e32 v4, v105, v4
	s_delay_alu instid0(VALU_DEP_1) | instskip(SKIP_2) | instid1(SALU_CYCLE_1)
	v_cmp_gt_i32_e32 vcc_lo, 21, v4
	v_cmp_gt_i32_e64 s0, v4, v59
	s_or_b32 s0, vcc_lo, s0
	s_or_not1_b32 s0, s0, exec_lo
	s_branch .LBB1_11
.LBB1_712:
	s_or_b32 exec_lo, exec_lo, s65
	v_max_i32_e32 v4, 0, v107
.LBB1_713:
	s_or_b32 exec_lo, exec_lo, s37
	v_cmp_eq_u32_e32 vcc_lo, 0, v72
	s_and_b32 exec_lo, exec_lo, vcc_lo
	s_cbranch_execz .LBB1_715
; %bb.714:
	s_wait_kmcnt 0x0
	global_store_b32 v58, v4, s[54:55] scale_offset
.LBB1_715:
	s_endpgm
	.section	.rodata,"a",@progbits
	.p2align	6, 0x0
	.amdhsa_kernel _Z22iterative_walks_kernelILi32EEvPjS0_PcS1_S1_S0_S0_PdP6loc_htS0_P11loc_ht_boolijS0_llliijS1_S1_S0_i
		.amdhsa_group_segment_fixed_size 16384
		.amdhsa_private_segment_fixed_size 80
		.amdhsa_kernarg_size 432
		.amdhsa_user_sgpr_count 4
		.amdhsa_user_sgpr_dispatch_ptr 1
		.amdhsa_user_sgpr_queue_ptr 0
		.amdhsa_user_sgpr_kernarg_segment_ptr 1
		.amdhsa_user_sgpr_dispatch_id 0
		.amdhsa_user_sgpr_kernarg_preload_length 0
		.amdhsa_user_sgpr_kernarg_preload_offset 0
		.amdhsa_user_sgpr_private_segment_size 0
		.amdhsa_wavefront_size32 1
		.amdhsa_uses_dynamic_stack 0
		.amdhsa_enable_private_segment 1
		.amdhsa_system_sgpr_workgroup_id_x 1
		.amdhsa_system_sgpr_workgroup_id_y 0
		.amdhsa_system_sgpr_workgroup_id_z 0
		.amdhsa_system_sgpr_workgroup_info 0
		.amdhsa_system_vgpr_workitem_id 2
		.amdhsa_next_free_vgpr 109
		.amdhsa_next_free_sgpr 72
		.amdhsa_named_barrier_count 0
		.amdhsa_reserve_vcc 1
		.amdhsa_float_round_mode_32 0
		.amdhsa_float_round_mode_16_64 0
		.amdhsa_float_denorm_mode_32 3
		.amdhsa_float_denorm_mode_16_64 3
		.amdhsa_fp16_overflow 0
		.amdhsa_memory_ordered 1
		.amdhsa_forward_progress 1
		.amdhsa_inst_pref_size 188
		.amdhsa_round_robin_scheduling 0
		.amdhsa_exception_fp_ieee_invalid_op 0
		.amdhsa_exception_fp_denorm_src 0
		.amdhsa_exception_fp_ieee_div_zero 0
		.amdhsa_exception_fp_ieee_overflow 0
		.amdhsa_exception_fp_ieee_underflow 0
		.amdhsa_exception_fp_ieee_inexact 0
		.amdhsa_exception_int_div_zero 0
	.end_amdhsa_kernel
	.section	.text._Z22iterative_walks_kernelILi32EEvPjS0_PcS1_S1_S0_S0_PdP6loc_htS0_P11loc_ht_boolijS0_llliijS1_S1_S0_i,"axG",@progbits,_Z22iterative_walks_kernelILi32EEvPjS0_PcS1_S1_S0_S0_PdP6loc_htS0_P11loc_ht_boolijS0_llliijS1_S1_S0_i,comdat
.Lfunc_end1:
	.size	_Z22iterative_walks_kernelILi32EEvPjS0_PcS1_S1_S0_S0_PdP6loc_htS0_P11loc_ht_boolijS0_llliijS1_S1_S0_i, .Lfunc_end1-_Z22iterative_walks_kernelILi32EEvPjS0_PcS1_S1_S0_S0_PdP6loc_htS0_P11loc_ht_boolijS0_llliijS1_S1_S0_i
                                        ; -- End function
	.set _Z22iterative_walks_kernelILi32EEvPjS0_PcS1_S1_S0_S0_PdP6loc_htS0_P11loc_ht_boolijS0_llliijS1_S1_S0_i.num_vgpr, max(109, .L_Z13ht_get_atomicP6loc_ht9cstr_typej.num_vgpr)
	.set _Z22iterative_walks_kernelILi32EEvPjS0_PcS1_S1_S0_S0_PdP6loc_htS0_P11loc_ht_boolijS0_llliijS1_S1_S0_i.num_agpr, max(0, .L_Z13ht_get_atomicP6loc_ht9cstr_typej.num_agpr)
	.set _Z22iterative_walks_kernelILi32EEvPjS0_PcS1_S1_S0_S0_PdP6loc_htS0_P11loc_ht_boolijS0_llliijS1_S1_S0_i.numbered_sgpr, max(72, .L_Z13ht_get_atomicP6loc_ht9cstr_typej.numbered_sgpr)
	.set _Z22iterative_walks_kernelILi32EEvPjS0_PcS1_S1_S0_S0_PdP6loc_htS0_P11loc_ht_boolijS0_llliijS1_S1_S0_i.num_named_barrier, max(0, .L_Z13ht_get_atomicP6loc_ht9cstr_typej.num_named_barrier)
	.set _Z22iterative_walks_kernelILi32EEvPjS0_PcS1_S1_S0_S0_PdP6loc_htS0_P11loc_ht_boolijS0_llliijS1_S1_S0_i.private_seg_size, 80+max(.L_Z13ht_get_atomicP6loc_ht9cstr_typej.private_seg_size)
	.set _Z22iterative_walks_kernelILi32EEvPjS0_PcS1_S1_S0_S0_PdP6loc_htS0_P11loc_ht_boolijS0_llliijS1_S1_S0_i.uses_vcc, or(1, .L_Z13ht_get_atomicP6loc_ht9cstr_typej.uses_vcc)
	.set _Z22iterative_walks_kernelILi32EEvPjS0_PcS1_S1_S0_S0_PdP6loc_htS0_P11loc_ht_boolijS0_llliijS1_S1_S0_i.uses_flat_scratch, or(1, .L_Z13ht_get_atomicP6loc_ht9cstr_typej.uses_flat_scratch)
	.set _Z22iterative_walks_kernelILi32EEvPjS0_PcS1_S1_S0_S0_PdP6loc_htS0_P11loc_ht_boolijS0_llliijS1_S1_S0_i.has_dyn_sized_stack, or(0, .L_Z13ht_get_atomicP6loc_ht9cstr_typej.has_dyn_sized_stack)
	.set _Z22iterative_walks_kernelILi32EEvPjS0_PcS1_S1_S0_S0_PdP6loc_htS0_P11loc_ht_boolijS0_llliijS1_S1_S0_i.has_recursion, or(0, .L_Z13ht_get_atomicP6loc_ht9cstr_typej.has_recursion)
	.set _Z22iterative_walks_kernelILi32EEvPjS0_PcS1_S1_S0_S0_PdP6loc_htS0_P11loc_ht_boolijS0_llliijS1_S1_S0_i.has_indirect_call, or(0, .L_Z13ht_get_atomicP6loc_ht9cstr_typej.has_indirect_call)
	.section	.AMDGPU.csdata,"",@progbits
; Kernel info:
; codeLenInByte = 24056
; TotalNumSgprs: 74
; NumVgprs: 109
; ScratchSize: 80
; MemoryBound: 0
; FloatMode: 240
; IeeeMode: 1
; LDSByteSize: 16384 bytes/workgroup (compile time only)
; SGPRBlocks: 0
; VGPRBlocks: 6
; NumSGPRsForWavesPerEU: 74
; NumVGPRsForWavesPerEU: 109
; NamedBarCnt: 0
; Occupancy: 9
; WaveLimiterHint : 1
; COMPUTE_PGM_RSRC2:SCRATCH_EN: 1
; COMPUTE_PGM_RSRC2:USER_SGPR: 4
; COMPUTE_PGM_RSRC2:TRAP_HANDLER: 0
; COMPUTE_PGM_RSRC2:TGID_X_EN: 1
; COMPUTE_PGM_RSRC2:TGID_Y_EN: 0
; COMPUTE_PGM_RSRC2:TGID_Z_EN: 0
; COMPUTE_PGM_RSRC2:TIDIG_COMP_CNT: 2
	.section	.text._Z22iterative_walks_kernelILi64EEvPjS0_PcS1_S1_S0_S0_PdP6loc_htS0_P11loc_ht_boolijS0_llliijS1_S1_S0_i,"axG",@progbits,_Z22iterative_walks_kernelILi64EEvPjS0_PcS1_S1_S0_S0_PdP6loc_htS0_P11loc_ht_boolijS0_llliijS1_S1_S0_i,comdat
	.protected	_Z22iterative_walks_kernelILi64EEvPjS0_PcS1_S1_S0_S0_PdP6loc_htS0_P11loc_ht_boolijS0_llliijS1_S1_S0_i ; -- Begin function _Z22iterative_walks_kernelILi64EEvPjS0_PcS1_S1_S0_S0_PdP6loc_htS0_P11loc_ht_boolijS0_llliijS1_S1_S0_i
	.globl	_Z22iterative_walks_kernelILi64EEvPjS0_PcS1_S1_S0_S0_PdP6loc_htS0_P11loc_ht_boolijS0_llliijS1_S1_S0_i
	.p2align	8
	.type	_Z22iterative_walks_kernelILi64EEvPjS0_PcS1_S1_S0_S0_PdP6loc_htS0_P11loc_ht_boolijS0_llliijS1_S1_S0_i,@function
_Z22iterative_walks_kernelILi64EEvPjS0_PcS1_S1_S0_S0_PdP6loc_htS0_P11loc_ht_boolijS0_llliijS1_S1_S0_i: ; @_Z22iterative_walks_kernelILi64EEvPjS0_PcS1_S1_S0_S0_PdP6loc_htS0_P11loc_ht_boolijS0_llliijS1_S1_S0_i
; %bb.0:
	s_clause 0x1
	s_load_b32 s4, s[2:3], 0xbc
	s_load_b32 s5, s[2:3], 0xa8
	s_bfe_u32 s6, ttmp6, 0x4000c
	s_and_b32 s7, ttmp6, 15
	s_add_co_i32 s6, s6, 1
	s_getreg_b32 s8, hwreg(HW_REG_IB_STS2, 6, 4)
	s_mul_i32 s6, ttmp9, s6
	v_and_b32_e32 v1, 0x3ff, v0
	s_add_co_i32 s7, s7, s6
	s_movk_i32 s32, 0x50
	s_wait_kmcnt 0x0
	s_and_b32 s4, s4, 0xffff
	s_cmp_eq_u32 s8, 0
	s_cselect_b32 s6, ttmp9, s7
	s_delay_alu instid0(SALU_CYCLE_1) | instskip(SKIP_1) | instid1(VALU_DEP_1)
	v_mad_u32 v2, s6, s4, v1
	s_mov_b32 s4, exec_lo
	v_lshrrev_b32_e32 v58, 6, v2
	s_delay_alu instid0(VALU_DEP_1)
	v_cmpx_gt_i32_e64 s5, v58
	s_cbranch_execz .LBB2_715
; %bb.1:
	s_clause 0x4
	s_load_b512 s[36:51], s[2:3], 0x8
	s_load_b128 s[4:7], s[2:3], 0x48
	s_load_b64 s[12:13], s[2:3], 0x58
	s_load_b64 s[52:53], s[2:3], 0x70
	s_load_b128 s[8:11], s[2:3], 0x90
	v_dual_mov_b32 v59, 0 :: v_dual_lshlrev_b32 v44, 2, v58
	v_cmp_lt_u32_e64 s25, 63, v2
                                        ; implicit-def: $vgpr53
                                        ; implicit-def: $vgpr43
                                        ; implicit-def: $vgpr60_vgpr61
                                        ; implicit-def: $vgpr62_vgpr63
                                        ; implicit-def: $vgpr66_vgpr67
                                        ; implicit-def: $vgpr68_vgpr69
                                        ; implicit-def: $vgpr64_vgpr65
                                        ; implicit-def: $vgpr42
                                        ; implicit-def: $vgpr40_vgpr41
                                        ; implicit-def: $vgpr70_vgpr71
                                        ; implicit-def: $vgpr2_vgpr3
	s_and_saveexec_b32 s14, s25
	s_delay_alu instid0(SALU_CYCLE_1)
	s_xor_b32 s14, exec_lo, s14
	s_cbranch_execz .LBB2_7
; %bb.2:
	s_wait_kmcnt 0x0
	s_clause 0x1
	global_load_b64 v[4:5], v44, s[46:47] offset:-4
	global_load_b64 v[6:7], v44, s[36:37] offset:-4
	global_load_b64 v[2:3], v58, s[48:49] scale_offset
	v_mov_b64_e32 v[60:61], s[40:41]
	s_wait_loadcnt 0x2
	v_cmp_ne_u32_e32 vcc_lo, 0, v4
	s_wait_xcnt 0x0
	s_and_saveexec_b32 s15, vcc_lo
	s_cbranch_execz .LBB2_4
; %bb.3:
	v_dual_mov_b32 v9, 0 :: v_dual_add_nc_u32 v8, -1, v4
	global_load_b32 v8, v8, s[44:45] scale_offset
	s_wait_loadcnt 0x0
	v_add_nc_u64_e32 v[60:61], s[40:41], v[8:9]
.LBB2_4:
	s_or_b32 exec_lo, exec_lo, s15
	v_mov_b64_e32 v[62:63], s[42:43]
	s_and_saveexec_b32 s15, vcc_lo
	s_cbranch_execz .LBB2_6
; %bb.5:
	v_dual_mov_b32 v9, 0 :: v_dual_add_nc_u32 v8, -1, v4
	global_load_b32 v8, v8, s[44:45] scale_offset
	s_wait_loadcnt 0x0
	v_add_nc_u64_e32 v[62:63], s[42:43], v[8:9]
.LBB2_6:
	s_or_b32 exec_lo, exec_lo, s15
	global_load_b64 v[8:9], v44, s[4:5] offset:-4
	v_mul_u64_e32 v[10:11], s[52:53], v[58:59]
	s_mov_b32 s17, 0
	s_mov_b32 s16, s13
	s_wait_loadcnt 0x2
	v_dual_mov_b32 v13, 0 :: v_dual_mov_b32 v12, v6
	s_add_nc_u64 s[16:17], s[52:53], s[16:17]
	v_dual_sub_nc_u32 v43, v7, v6 :: v_dual_sub_nc_u32 v53, v5, v4
	v_mad_nc_u64_u32 v[66:67], s16, v58, s[10:11]
	s_delay_alu instid0(VALU_DEP_3) | instskip(NEXT) | instid1(VALU_DEP_2)
	v_add_nc_u64_e32 v[70:71], s[38:39], v[12:13]
	v_mad_u32 v67, s17, v58, v67
	v_mad_nc_u64_u32 v[64:65], v10, 24, s[6:7]
	v_add_nc_u64_e32 v[68:69], s[8:9], v[10:11]
	s_delay_alu instid0(VALU_DEP_2)
	v_mad_u32 v65, v11, 24, v65
	s_wait_loadcnt 0x0
	v_mad_nc_u64_u32 v[40:41], v8, 56, s[50:51]
	v_sub_nc_u32_e32 v42, v9, v8
.LBB2_7:
	s_wait_kmcnt 0x0
	s_or_saveexec_b32 s13, s14
	s_load_b64 s[54:55], s[2:3], 0xa0
	s_xor_b32 exec_lo, exec_lo, s13
	s_cbranch_execz .LBB2_9
; %bb.8:
	s_load_b64 s[14:15], s[48:49], 0x0
	s_load_b32 s16, s[4:5], 0x0
	s_load_b32 s17, s[36:37], 0x0
	;; [unrolled: 1-line block ×3, first 2 shown]
	v_mov_b64_e32 v[70:71], s[38:39]
	v_mov_b64_e32 v[40:41], s[50:51]
	;; [unrolled: 1-line block ×7, first 2 shown]
	s_wait_kmcnt 0x0
	v_mov_b64_e32 v[2:3], s[14:15]
	v_dual_mov_b32 v42, s16 :: v_dual_mov_b32 v43, s17
	v_mov_b32_e32 v53, s18
.LBB2_9:
	s_or_b32 exec_lo, exec_lo, s13
	s_delay_alu instid0(VALU_DEP_2) | instskip(SKIP_3) | instid1(VALU_DEP_2)
	v_dual_mov_b32 v4, 0 :: v_dual_min_i32 v59, 0x79, v43
	s_cmp_gt_i32 s12, 20
	v_and_b32_e32 v72, 63, v1
	s_cselect_b32 s4, -1, 0
	v_cmp_le_i32_e32 vcc_lo, s12, v59
	s_and_b32 s4, s4, vcc_lo
	s_delay_alu instid0(SALU_CYCLE_1)
	s_and_saveexec_b32 s37, s4
	s_cbranch_execz .LBB2_713
; %bb.10:
	v_cvt_i32_f64_e32 v2, v[2:3]
	s_load_b32 s58, s[2:3], 0x88
	s_load_b64 s[4:5], s[0:1], 0x4
	v_cvt_f32_u32_e32 v7, v42
	v_dual_mov_b32 v45, 0 :: v_dual_sub_nc_u32 v9, 0, v42
	v_xad_u32 v8, v72, -1, v42
	v_bfe_u32 v6, v0, 10, 10
	s_delay_alu instid0(VALU_DEP_4) | instskip(NEXT) | instid1(VALU_DEP_3)
	v_rcp_iflag_f32_e32 v7, v7
	v_mov_b32_e32 v73, v45
	s_wait_xcnt 0x0
	s_cvt_f32_u32 s0, s52
	v_lshrrev_b32_e32 v10, 6, v8
	v_bfe_u32 v0, v0, 20, 10
	s_get_pc_i64 s[38:39]
	s_add_nc_u64 s[38:39], s[38:39], .str.3@rel64+4
	v_rcp_iflag_f32_e32 v11, s0
	v_dual_mul_f32 v7, 0x4f7ffffe, v7 :: v_dual_add_nc_u32 v10, 1, v10
	s_get_pc_i64 s[48:49]
	s_add_nc_u64 s[48:49], s[48:49], .str.4@rel64+4
	v_add_nc_u64_e32 v[74:75], s[46:47], v[44:45]
	v_cmp_gt_i64_e64 s34, s[52:53], v[72:73]
	v_cvt_u32_f32_e32 v7, v7
	v_and_b32_e32 v96, 0x7fffffe, v10
	s_wait_kmcnt 0x0
	v_mul_u32_u24_e32 v6, s5, v6
	s_lshr_b32 s0, s4, 16
	s_cmp_lg_u64 s[38:39], 0
	s_mul_i32 s0, s0, s5
	v_mul_lo_u32 v9, v9, v7
	v_mad_u32 v1, s0, v1, v6
	v_readfirstlane_b32 s0, v11
	s_cselect_b32 s59, -1, 0
	s_cmp_lg_u64 s[48:49], 0
	v_add_nc_u64_e32 v[86:87], 8, v[40:41]
	s_cselect_b32 s63, -1, 0
	v_cvt_f64_i32_e32 v[2:3], v2
	s_mul_f32 s0, s0, 0x4f7ffffe
	s_cmp_gt_i32 s52, 0
	v_mov_b64_e32 v[46:47], 0x100000002
	s_cselect_b32 s64, -1, 0
	v_add_lshl_u32 v97, v1, v0, 4
	v_mul_hi_u32 v0, v7, v9
	s_cvt_u32_f32 s0, s0
	s_sub_co_i32 s1, 0, s52
	v_cmp_lt_u32_e64 s28, v72, v42
	v_cmp_ne_u32_e64 s29, 0, v53
	s_mul_i32 s1, s1, s0
	v_cmp_eq_u32_e64 s33, 0, v72
	v_cmp_lt_u32_e64 s35, 63, v8
	v_lshl_or_b32 v80, v96, 6, v72
	v_mov_b32_e32 v82, v72
	v_cmp_ne_u32_e64 s36, v10, v96
	v_dual_mov_b32 v85, v45 :: v_dual_add_nc_u32 v84, v7, v0
	v_dual_mov_b32 v99, -1 :: v_dual_mov_b32 v102, 0x43
	v_mbcnt_lo_u32_b32 v100, -1, 0
	v_dual_mov_b32 v101, 0x41 :: v_dual_mov_b32 v54, 33
	v_dual_mov_b32 v103, 0x47 :: v_dual_mov_b32 v106, 1
	;; [unrolled: 1-line block ×3, first 2 shown]
	v_mov_b32_e32 v107, v45
	s_mov_b32 s40, 0
	s_mul_hi_u32 s1, s0, s1
	s_add_nc_u64 s[8:9], s[2:3], 0xb0
	v_mul_f64_e32 v[4:5], 0x3fc999999999999a, v[2:3]
	v_mul_f64_e32 v[2:3], 0x3fd3333333333333, v[2:3]
	s_mov_b32 s60, 16
	s_mov_b32 s61, 32
	;; [unrolled: 1-line block ×3, first 2 shown]
	s_add_co_i32 s56, s0, s1
	s_mov_b32 s57, s40
	s_mov_b32 s65, 0
	s_get_pc_i64 s[50:51]
	s_add_nc_u64 s[50:51], s[50:51], _Z13ht_get_atomicP6loc_ht9cstr_typej@rel64+4
	v_dual_mov_b32 v98, 1 :: v_dual_bitop2_b32 v83, 64, v72 bitop3:0x54
	s_delay_alu instid0(VALU_DEP_3) | instskip(NEXT) | instid1(VALU_DEP_3)
	v_max_num_f64_e32 v[76:77], 2.0, v[4:5]
	v_dual_max_num_f64 v[78:79], 2.0, v[2:3] :: v_dual_mov_b32 v4, s12
	s_branch .LBB2_13
.LBB2_11:                               ;   in Loop: Header=BB2_13 Depth=1
	s_or_b32 exec_lo, exec_lo, s2
	s_delay_alu instid0(SALU_CYCLE_1)
	s_or_not1_b32 s4, s0, exec_lo
.LBB2_12:                               ;   in Loop: Header=BB2_13 Depth=1
	s_or_b32 exec_lo, exec_lo, s1
	s_delay_alu instid0(SALU_CYCLE_1) | instskip(NEXT) | instid1(SALU_CYCLE_1)
	s_and_b32 s0, exec_lo, s4
	s_or_b32 s65, s0, s65
	s_delay_alu instid0(SALU_CYCLE_1)
	s_and_not1_b32 exec_lo, exec_lo, s65
	s_cbranch_execz .LBB2_712
.LBB2_13:                               ; =>This Loop Header: Depth=1
                                        ;     Child Loop BB2_16 Depth 2
                                        ;     Child Loop BB2_22 Depth 2
	;; [unrolled: 1-line block ×3, first 2 shown]
                                        ;       Child Loop BB2_41 Depth 3
                                        ;         Child Loop BB2_45 Depth 4
                                        ;         Child Loop BB2_53 Depth 4
	;; [unrolled: 1-line block ×9, first 2 shown]
                                        ;           Child Loop BB2_74 Depth 5
                                        ;           Child Loop BB2_81 Depth 5
	;; [unrolled: 1-line block ×11, first 2 shown]
                                        ;     Child Loop BB2_221 Depth 2
                                        ;       Child Loop BB2_330 Depth 3
                                        ;       Child Loop BB2_338 Depth 3
	;; [unrolled: 1-line block ×9, first 2 shown]
                                        ;         Child Loop BB2_431 Depth 4
                                        ;         Child Loop BB2_438 Depth 4
	;; [unrolled: 1-line block ×11, first 2 shown]
                                        ;     Child Loop BB2_567 Depth 2
                                        ;     Child Loop BB2_570 Depth 2
	;; [unrolled: 1-line block ×3, first 2 shown]
                                        ;       Child Loop BB2_583 Depth 3
                                        ;       Child Loop BB2_602 Depth 3
	;; [unrolled: 1-line block ×3, first 2 shown]
                                        ;         Child Loop BB2_613 Depth 4
                                        ;       Child Loop BB2_627 Depth 3
                                        ;       Child Loop BB2_646 Depth 3
	;; [unrolled: 1-line block ×3, first 2 shown]
                                        ;         Child Loop BB2_657 Depth 4
                                        ;     Child Loop BB2_698 Depth 2
	s_and_saveexec_b32 s0, s28
	s_cbranch_execz .LBB2_23
; %bb.14:                               ;   in Loop: Header=BB2_13 Depth=1
	v_mov_b64_e32 v[0:1], v[72:73]
	v_mov_b32_e32 v5, v72
	s_mov_b32 s2, -1
	s_and_saveexec_b32 s1, s35
	s_cbranch_execz .LBB2_20
; %bb.15:                               ;   in Loop: Header=BB2_13 Depth=1
	v_mov_b64_e32 v[0:1], v[82:83]
	v_mov_b32_e32 v2, v96
	s_mov_b32 s2, 0
.LBB2_16:                               ;   Parent Loop BB2_13 Depth=1
                                        ; =>  This Inner Loop Header: Depth=2
	s_delay_alu instid0(VALU_DEP_1) | instskip(NEXT) | instid1(VALU_DEP_3)
	v_add_nc_u32_e32 v2, -2, v2
	v_mad_nc_u64_u32 v[6:7], v0, 56, v[40:41]
	s_delay_alu instid0(VALU_DEP_4)
	v_mad_nc_u64_u32 v[8:9], v1, 56, v[40:41]
	v_add_nc_u32_e32 v1, 0x80, v1
	v_add_nc_u32_e32 v0, 0x80, v0
	v_cmp_eq_u32_e32 vcc_lo, 0, v2
	s_clause 0x1
	global_store_b32 v[6:7], v99, off offset:8
	global_store_b32 v[8:9], v99, off offset:8
	s_or_b32 s2, vcc_lo, s2
	s_wait_xcnt 0x0
	s_and_not1_b32 exec_lo, exec_lo, s2
	s_cbranch_execnz .LBB2_16
; %bb.17:                               ;   in Loop: Header=BB2_13 Depth=1
	s_or_b32 exec_lo, exec_lo, s2
	s_mov_b32 s2, 0
                                        ; implicit-def: $vgpr0_vgpr1
	s_and_saveexec_b32 s3, s36
; %bb.18:                               ;   in Loop: Header=BB2_13 Depth=1
	v_mov_b32_e32 v81, v45
	s_mov_b32 s2, exec_lo
	s_delay_alu instid0(VALU_DEP_1)
	v_mov_b64_e32 v[0:1], v[80:81]
; %bb.19:                               ;   in Loop: Header=BB2_13 Depth=1
	s_or_b32 exec_lo, exec_lo, s3
	v_mov_b32_e32 v5, v80
	s_or_not1_b32 s2, s2, exec_lo
.LBB2_20:                               ;   in Loop: Header=BB2_13 Depth=1
	s_or_b32 exec_lo, exec_lo, s1
	s_delay_alu instid0(SALU_CYCLE_1)
	s_and_b32 exec_lo, exec_lo, s2
	s_cbranch_execz .LBB2_23
; %bb.21:                               ;   in Loop: Header=BB2_13 Depth=1
	v_mad_nc_u64_u32 v[2:3], v0, 56, v[86:87]
	s_mov_b32 s1, 0
	s_delay_alu instid0(VALU_DEP_1)
	v_mad_u32 v3, v1, 56, v3
.LBB2_22:                               ;   Parent Loop BB2_13 Depth=1
                                        ; =>  This Inner Loop Header: Depth=2
	v_add_nc_u32_e32 v5, 64, v5
	global_store_b32 v[2:3], v99, off
	s_wait_xcnt 0x0
	v_add_nc_u64_e32 v[2:3], 0xe00, v[2:3]
	v_cmp_ge_u32_e32 vcc_lo, v5, v42
	s_or_b32 s1, vcc_lo, s1
	s_delay_alu instid0(SALU_CYCLE_1)
	s_and_not1_b32 exec_lo, exec_lo, s1
	s_cbranch_execnz .LBB2_22
.LBB2_23:                               ;   in Loop: Header=BB2_13 Depth=1
	s_or_b32 exec_lo, exec_lo, s0
	s_and_saveexec_b32 s66, s29
	s_cbranch_execz .LBB2_217
; %bb.24:                               ;   in Loop: Header=BB2_13 Depth=1
	v_mov_b32_e32 v88, 0
	s_mov_b32 s67, 0
	s_mov_b32 s68, 0
	s_branch .LBB2_27
.LBB2_25:                               ;   in Loop: Header=BB2_27 Depth=2
	s_or_b32 exec_lo, exec_lo, s70
	v_add_nc_u32_e32 v88, v81, v88
.LBB2_26:                               ;   in Loop: Header=BB2_27 Depth=2
	s_or_b32 exec_lo, exec_lo, s69
	s_add_co_i32 s68, s68, 1
	s_delay_alu instid0(SALU_CYCLE_1) | instskip(SKIP_1) | instid1(SALU_CYCLE_1)
	v_cmp_eq_u32_e32 vcc_lo, s68, v53
	s_or_b32 s67, vcc_lo, s67
	s_and_not1_b32 exec_lo, exec_lo, s67
	s_cbranch_execz .LBB2_217
.LBB2_27:                               ;   Parent Loop BB2_13 Depth=1
                                        ; =>  This Loop Header: Depth=2
                                        ;       Child Loop BB2_41 Depth 3
                                        ;         Child Loop BB2_45 Depth 4
                                        ;         Child Loop BB2_53 Depth 4
	;; [unrolled: 1-line block ×9, first 2 shown]
                                        ;           Child Loop BB2_74 Depth 5
                                        ;           Child Loop BB2_81 Depth 5
	;; [unrolled: 1-line block ×11, first 2 shown]
	s_cmp_lg_u32 s68, 0
	s_cbranch_scc0 .LBB2_30
; %bb.28:                               ;   in Loop: Header=BB2_27 Depth=2
	global_load_b32 v0, v[74:75], off
	s_wait_loadcnt 0x0
	v_sub_nc_u32_e32 v0, v0, v53
	s_delay_alu instid0(VALU_DEP_1) | instskip(NEXT) | instid1(VALU_DEP_1)
	v_add_nc_u32_e32 v0, s68, v0
	v_add_nc_u32_e32 v1, -1, v0
	s_clause 0x1
	global_load_b32 v2, v0, s[44:45] scale_offset
	global_load_b32 v3, v1, s[44:45] scale_offset
	s_wait_loadcnt 0x0
	v_sub_nc_u32_e32 v81, v2, v3
	s_cbranch_execz .LBB2_31
; %bb.29:                               ;   in Loop: Header=BB2_27 Depth=2
	s_mov_b32 s69, exec_lo
	s_wait_xcnt 0x0
	s_delay_alu instid0(VALU_DEP_1)
	v_cmpx_ge_i32_e64 v81, v4
	s_cbranch_execz .LBB2_26
	s_branch .LBB2_38
.LBB2_30:                               ;   in Loop: Header=BB2_27 Depth=2
                                        ; implicit-def: $vgpr81
.LBB2_31:                               ;   in Loop: Header=BB2_27 Depth=2
                                        ; implicit-def: $vgpr81
	s_wait_xcnt 0x0
	s_and_saveexec_b32 s0, s25
	s_delay_alu instid0(SALU_CYCLE_1)
	s_xor_b32 s0, exec_lo, s0
	s_cbranch_execz .LBB2_35
; %bb.32:                               ;   in Loop: Header=BB2_27 Depth=2
	global_load_b64 v[0:1], v[74:75], off offset:-4
	s_mov_b32 s1, exec_lo
	s_wait_loadcnt 0x0
	v_sub_nc_u32_e32 v1, v1, v53
	global_load_b32 v81, v1, s[44:45] scale_offset
	s_wait_xcnt 0x0
	v_cmpx_ne_u32_e32 0, v0
	s_cbranch_execz .LBB2_34
; %bb.33:                               ;   in Loop: Header=BB2_27 Depth=2
	v_add_nc_u32_e32 v0, -1, v0
	global_load_b32 v0, v0, s[44:45] scale_offset
	s_wait_loadcnt 0x0
	v_sub_nc_u32_e32 v81, v81, v0
.LBB2_34:                               ;   in Loop: Header=BB2_27 Depth=2
	s_wait_xcnt 0x0
	s_or_b32 exec_lo, exec_lo, s1
.LBB2_35:                               ;   in Loop: Header=BB2_27 Depth=2
	s_and_not1_saveexec_b32 s0, s0
	s_cbranch_execz .LBB2_37
; %bb.36:                               ;   in Loop: Header=BB2_27 Depth=2
	global_load_b32 v0, v45, s[46:47]
	s_wait_loadcnt 0x0
	v_sub_nc_u32_e32 v0, v0, v53
	global_load_b32 v81, v0, s[44:45] scale_offset
.LBB2_37:                               ;   in Loop: Header=BB2_27 Depth=2
	s_wait_xcnt 0x0
	s_or_b32 exec_lo, exec_lo, s0
	s_delay_alu instid0(SALU_CYCLE_1)
	s_mov_b32 s69, exec_lo
	s_wait_loadcnt 0x0
	v_cmpx_ge_i32_e64 v81, v4
	s_cbranch_execz .LBB2_26
.LBB2_38:                               ;   in Loop: Header=BB2_27 Depth=2
	v_sub_nc_u32_e32 v108, v81, v4
	s_mov_b32 s70, exec_lo
	s_delay_alu instid0(VALU_DEP_1)
	v_cmpx_lt_i32_e64 v72, v108
	s_cbranch_execz .LBB2_25
; %bb.39:                               ;   in Loop: Header=BB2_27 Depth=2
	v_dual_mov_b32 v89, v45 :: v_dual_mov_b32 v94, v72
	s_mov_b32 s71, 0
	s_delay_alu instid0(VALU_DEP_1)
	v_add_nc_u64_e32 v[90:91], v[60:61], v[88:89]
	v_add_nc_u64_e32 v[92:93], v[62:63], v[88:89]
	s_branch .LBB2_41
.LBB2_40:                               ;   in Loop: Header=BB2_41 Depth=3
	s_wait_xcnt 0x0
	s_or_b32 exec_lo, exec_lo, s0
	v_add_nc_u32_e32 v94, 64, v94
	s_delay_alu instid0(VALU_DEP_1) | instskip(SKIP_1) | instid1(SALU_CYCLE_1)
	v_cmp_ge_i32_e32 vcc_lo, v94, v108
	s_or_b32 s71, vcc_lo, s71
	s_and_not1_b32 exec_lo, exec_lo, s71
	s_cbranch_execz .LBB2_25
.LBB2_41:                               ;   Parent Loop BB2_13 Depth=1
                                        ;     Parent Loop BB2_27 Depth=2
                                        ; =>    This Loop Header: Depth=3
                                        ;         Child Loop BB2_45 Depth 4
                                        ;         Child Loop BB2_53 Depth 4
	;; [unrolled: 1-line block ×9, first 2 shown]
                                        ;           Child Loop BB2_74 Depth 5
                                        ;           Child Loop BB2_81 Depth 5
	;; [unrolled: 1-line block ×11, first 2 shown]
	v_dual_mov_b32 v95, v45 :: v_dual_mov_b32 v0, v40
	v_dual_mov_b32 v1, v41 :: v_dual_mov_b32 v5, v42
	s_delay_alu instid0(VALU_DEP_2) | instskip(SKIP_3) | instid1(VALU_DEP_1)
	v_add_nc_u64_e32 v[2:3], v[90:91], v[94:95]
	s_swap_pc_i64 s[30:31], s[50:51]
	v_add_nc_u32_e32 v2, v94, v4
	s_mov_b32 s16, exec_lo
	v_cmpx_ge_i32_e64 v2, v81
	s_cbranch_execz .LBB2_174
; %bb.42:                               ;   in Loop: Header=BB2_41 Depth=3
	s_load_b64 s[2:3], s[8:9], 0x50
	v_readfirstlane_b32 s0, v100
	v_mov_b64_e32 v[10:11], 0
	s_delay_alu instid0(VALU_DEP_2)
	v_cmp_eq_u32_e64 s0, s0, v100
	s_and_saveexec_b32 s1, s0
	s_cbranch_execz .LBB2_48
; %bb.43:                               ;   in Loop: Header=BB2_41 Depth=3
	s_wait_kmcnt 0x0
	global_load_b64 v[8:9], v45, s[2:3] offset:24 scope:SCOPE_SYS
	s_wait_loadcnt 0x0
	global_inv scope:SCOPE_SYS
	s_clause 0x1
	global_load_b64 v[6:7], v45, s[2:3] offset:40
	global_load_b64 v[10:11], v45, s[2:3]
	s_mov_b32 s4, exec_lo
	s_wait_loadcnt 0x1
	v_and_b32_e32 v6, v6, v8
	v_and_b32_e32 v7, v7, v9
	s_delay_alu instid0(VALU_DEP_1) | instskip(SKIP_1) | instid1(VALU_DEP_1)
	v_mul_u64_e32 v[6:7], 24, v[6:7]
	s_wait_loadcnt 0x0
	v_add_nc_u64_e32 v[6:7], v[10:11], v[6:7]
	global_load_b64 v[6:7], v[6:7], off scope:SCOPE_SYS
	s_wait_xcnt 0x0
	s_wait_loadcnt 0x0
	global_atomic_cmpswap_b64 v[10:11], v45, v[6:9], s[2:3] offset:24 th:TH_ATOMIC_RETURN scope:SCOPE_SYS
	s_wait_loadcnt 0x0
	global_inv scope:SCOPE_SYS
	s_wait_xcnt 0x0
	v_cmpx_ne_u64_e64 v[10:11], v[8:9]
	s_cbranch_execz .LBB2_47
; %bb.44:                               ;   in Loop: Header=BB2_41 Depth=3
	s_mov_b32 s5, 0
.LBB2_45:                               ;   Parent Loop BB2_13 Depth=1
                                        ;     Parent Loop BB2_27 Depth=2
                                        ;       Parent Loop BB2_41 Depth=3
                                        ; =>      This Inner Loop Header: Depth=4
	s_sleep 1
	s_clause 0x1
	global_load_b64 v[6:7], v45, s[2:3] offset:40
	global_load_b64 v[12:13], v45, s[2:3]
	v_mov_b64_e32 v[8:9], v[10:11]
	s_wait_loadcnt 0x1
	s_delay_alu instid0(VALU_DEP_1) | instskip(SKIP_1) | instid1(VALU_DEP_1)
	v_and_b32_e32 v3, v6, v8
	s_wait_loadcnt 0x0
	v_mad_nc_u64_u32 v[10:11], v3, 24, v[12:13]
	s_delay_alu instid0(VALU_DEP_3) | instskip(NEXT) | instid1(VALU_DEP_1)
	v_and_b32_e32 v3, v7, v9
	v_mad_u32 v11, v3, 24, v11
	global_load_b64 v[6:7], v[10:11], off scope:SCOPE_SYS
	s_wait_xcnt 0x0
	s_wait_loadcnt 0x0
	global_atomic_cmpswap_b64 v[10:11], v45, v[6:9], s[2:3] offset:24 th:TH_ATOMIC_RETURN scope:SCOPE_SYS
	s_wait_loadcnt 0x0
	global_inv scope:SCOPE_SYS
	v_cmp_eq_u64_e32 vcc_lo, v[10:11], v[8:9]
	s_or_b32 s5, vcc_lo, s5
	s_wait_xcnt 0x0
	s_and_not1_b32 exec_lo, exec_lo, s5
	s_cbranch_execnz .LBB2_45
; %bb.46:                               ;   in Loop: Header=BB2_41 Depth=3
	s_or_b32 exec_lo, exec_lo, s5
.LBB2_47:                               ;   in Loop: Header=BB2_41 Depth=3
	s_delay_alu instid0(SALU_CYCLE_1)
	s_or_b32 exec_lo, exec_lo, s4
.LBB2_48:                               ;   in Loop: Header=BB2_41 Depth=3
	s_delay_alu instid0(SALU_CYCLE_1)
	s_or_b32 exec_lo, exec_lo, s1
	s_wait_kmcnt 0x0
	s_clause 0x1
	global_load_b64 v[12:13], v45, s[2:3] offset:40
	global_load_b128 v[6:9], v45, s[2:3]
	v_readfirstlane_b32 s4, v10
	v_readfirstlane_b32 s5, v11
	s_mov_b32 s1, exec_lo
	s_wait_loadcnt 0x1
	v_and_b32_e32 v12, s4, v12
	v_and_b32_e32 v13, s5, v13
	s_delay_alu instid0(VALU_DEP_1) | instskip(SKIP_1) | instid1(VALU_DEP_1)
	v_mul_u64_e32 v[10:11], 24, v[12:13]
	s_wait_loadcnt 0x0
	v_add_nc_u64_e32 v[10:11], v[6:7], v[10:11]
	s_wait_xcnt 0x0
	s_and_saveexec_b32 s6, s0
	s_cbranch_execz .LBB2_50
; %bb.49:                               ;   in Loop: Header=BB2_41 Depth=3
	v_mov_b32_e32 v44, s1
	global_store_b128 v[10:11], v[44:47], off offset:8
.LBB2_50:                               ;   in Loop: Header=BB2_41 Depth=3
	s_wait_xcnt 0x0
	s_or_b32 exec_lo, exec_lo, s6
	v_lshlrev_b64_e32 v[12:13], 12, v[12:13]
	s_mov_b32 s41, s40
	s_mov_b32 s42, s40
	;; [unrolled: 1-line block ×3, first 2 shown]
	v_mov_b64_e32 v[14:15], s[40:41]
	v_mov_b64_e32 v[16:17], s[42:43]
	v_dual_mov_b32 v55, v45 :: v_dual_lshlrev_b32 v28, 6, v100
	v_add_nc_u64_e32 v[12:13], v[8:9], v[12:13]
	v_dual_mov_b32 v56, v45 :: v_dual_mov_b32 v57, v45
	s_delay_alu instid0(VALU_DEP_2) | instskip(NEXT) | instid1(VALU_DEP_3)
	v_readfirstlane_b32 s6, v12
	v_readfirstlane_b32 s7, v13
	s_clause 0x3
	global_store_b128 v28, v[54:57], s[6:7]
	global_store_b128 v28, v[14:17], s[6:7] offset:16
	global_store_b128 v28, v[14:17], s[6:7] offset:32
	;; [unrolled: 1-line block ×3, first 2 shown]
	s_wait_xcnt 0x0
	s_and_saveexec_b32 s1, s0
	s_cbranch_execz .LBB2_58
; %bb.51:                               ;   in Loop: Header=BB2_41 Depth=3
	s_clause 0x1
	global_load_b64 v[18:19], v45, s[2:3] offset:32 scope:SCOPE_SYS
	global_load_b64 v[8:9], v45, s[2:3] offset:40
	s_mov_b32 s6, exec_lo
	v_dual_mov_b32 v16, s4 :: v_dual_mov_b32 v17, s5
	s_wait_loadcnt 0x0
	v_and_b32_e32 v9, s5, v9
	v_and_b32_e32 v8, s4, v8
	s_delay_alu instid0(VALU_DEP_1) | instskip(NEXT) | instid1(VALU_DEP_1)
	v_mul_u64_e32 v[8:9], 24, v[8:9]
	v_add_nc_u64_e32 v[14:15], v[6:7], v[8:9]
	global_store_b64 v[14:15], v[18:19], off
	global_wb scope:SCOPE_SYS
	s_wait_storecnt 0x0
	s_wait_xcnt 0x0
	global_atomic_cmpswap_b64 v[8:9], v45, v[16:19], s[2:3] offset:32 th:TH_ATOMIC_RETURN scope:SCOPE_SYS
	s_wait_loadcnt 0x0
	v_cmpx_ne_u64_e64 v[8:9], v[18:19]
	s_cbranch_execz .LBB2_54
; %bb.52:                               ;   in Loop: Header=BB2_41 Depth=3
	s_mov_b32 s7, 0
.LBB2_53:                               ;   Parent Loop BB2_13 Depth=1
                                        ;     Parent Loop BB2_27 Depth=2
                                        ;       Parent Loop BB2_41 Depth=3
                                        ; =>      This Inner Loop Header: Depth=4
	v_dual_mov_b32 v6, s4 :: v_dual_mov_b32 v7, s5
	s_sleep 1
	global_store_b64 v[14:15], v[8:9], off
	global_wb scope:SCOPE_SYS
	s_wait_storecnt 0x0
	s_wait_xcnt 0x0
	global_atomic_cmpswap_b64 v[6:7], v45, v[6:9], s[2:3] offset:32 th:TH_ATOMIC_RETURN scope:SCOPE_SYS
	s_wait_loadcnt 0x0
	v_cmp_eq_u64_e32 vcc_lo, v[6:7], v[8:9]
	v_mov_b64_e32 v[8:9], v[6:7]
	s_or_b32 s7, vcc_lo, s7
	s_delay_alu instid0(SALU_CYCLE_1)
	s_and_not1_b32 exec_lo, exec_lo, s7
	s_cbranch_execnz .LBB2_53
.LBB2_54:                               ;   in Loop: Header=BB2_41 Depth=3
	s_or_b32 exec_lo, exec_lo, s6
	global_load_b64 v[6:7], v45, s[2:3] offset:16
	s_mov_b32 s7, exec_lo
	s_mov_b32 s6, exec_lo
	v_mbcnt_lo_u32_b32 v3, s7, 0
	s_wait_xcnt 0x0
	s_delay_alu instid0(VALU_DEP_1)
	v_cmpx_eq_u32_e32 0, v3
	s_cbranch_execz .LBB2_56
; %bb.55:                               ;   in Loop: Header=BB2_41 Depth=3
	s_bcnt1_i32_b32 s7, s7
	s_delay_alu instid0(SALU_CYCLE_1)
	v_mov_b32_e32 v44, s7
	global_wb scope:SCOPE_SYS
	s_wait_loadcnt 0x0
	s_wait_storecnt 0x0
	global_atomic_add_u64 v[6:7], v[44:45], off offset:8 scope:SCOPE_SYS
.LBB2_56:                               ;   in Loop: Header=BB2_41 Depth=3
	s_wait_xcnt 0x0
	s_or_b32 exec_lo, exec_lo, s6
	s_wait_loadcnt 0x0
	global_load_b64 v[8:9], v[6:7], off offset:16
	s_wait_loadcnt 0x0
	v_cmp_eq_u64_e32 vcc_lo, 0, v[8:9]
	s_cbranch_vccnz .LBB2_58
; %bb.57:                               ;   in Loop: Header=BB2_41 Depth=3
	global_load_b32 v44, v[6:7], off offset:24
	s_wait_loadcnt 0x0
	v_readfirstlane_b32 s6, v44
	global_wb scope:SCOPE_SYS
	s_wait_storecnt 0x0
	s_wait_xcnt 0x0
	global_store_b64 v[8:9], v[44:45], off scope:SCOPE_SYS
	s_and_b32 m0, s6, 0xffffff
	s_sendmsg sendmsg(MSG_INTERRUPT)
.LBB2_58:                               ;   in Loop: Header=BB2_41 Depth=3
	s_wait_xcnt 0x0
	s_or_b32 exec_lo, exec_lo, s1
	v_mov_b32_e32 v29, v45
	s_delay_alu instid0(VALU_DEP_1)
	v_add_nc_u64_e32 v[6:7], v[12:13], v[28:29]
	s_branch .LBB2_62
.LBB2_59:                               ;   in Loop: Header=BB2_62 Depth=4
	s_wait_xcnt 0x0
	s_or_b32 exec_lo, exec_lo, s1
	s_delay_alu instid0(VALU_DEP_1)
	v_readfirstlane_b32 s1, v3
	s_cmp_eq_u32 s1, 0
	s_cbranch_scc1 .LBB2_61
; %bb.60:                               ;   in Loop: Header=BB2_62 Depth=4
	s_sleep 1
	s_cbranch_execnz .LBB2_62
	s_branch .LBB2_64
.LBB2_61:                               ;   in Loop: Header=BB2_41 Depth=3
	s_branch .LBB2_64
.LBB2_62:                               ;   Parent Loop BB2_13 Depth=1
                                        ;     Parent Loop BB2_27 Depth=2
                                        ;       Parent Loop BB2_41 Depth=3
                                        ; =>      This Inner Loop Header: Depth=4
	v_mov_b32_e32 v3, 1
	s_and_saveexec_b32 s1, s0
	s_cbranch_execz .LBB2_59
; %bb.63:                               ;   in Loop: Header=BB2_62 Depth=4
	global_load_b32 v3, v[10:11], off offset:20 scope:SCOPE_SYS
	s_wait_loadcnt 0x0
	global_inv scope:SCOPE_SYS
	v_and_b32_e32 v3, 1, v3
	s_branch .LBB2_59
.LBB2_64:                               ;   in Loop: Header=BB2_41 Depth=3
	global_load_b64 v[6:7], v[6:7], off
	s_wait_xcnt 0x0
	s_and_saveexec_b32 s6, s0
	s_cbranch_execz .LBB2_68
; %bb.65:                               ;   in Loop: Header=BB2_41 Depth=3
	s_clause 0x2
	global_load_b64 v[8:9], v45, s[2:3] offset:40
	global_load_b64 v[16:17], v45, s[2:3] offset:24 scope:SCOPE_SYS
	global_load_b64 v[10:11], v45, s[2:3]
	s_wait_loadcnt 0x2
	v_readfirstlane_b32 s10, v8
	v_readfirstlane_b32 s11, v9
	s_add_nc_u64 s[0:1], s[10:11], 1
	s_delay_alu instid0(SALU_CYCLE_1) | instskip(NEXT) | instid1(SALU_CYCLE_1)
	s_add_nc_u64 s[4:5], s[0:1], s[4:5]
	s_cmp_eq_u64 s[4:5], 0
	s_cselect_b32 s1, s1, s5
	s_cselect_b32 s0, s0, s4
	s_delay_alu instid0(SALU_CYCLE_1) | instskip(SKIP_1) | instid1(SALU_CYCLE_1)
	v_dual_mov_b32 v15, s1 :: v_dual_mov_b32 v14, s0
	s_and_b64 s[4:5], s[0:1], s[10:11]
	s_mul_u64 s[4:5], s[4:5], 24
	s_wait_loadcnt 0x0
	v_add_nc_u64_e32 v[12:13], s[4:5], v[10:11]
	global_store_b64 v[12:13], v[16:17], off
	global_wb scope:SCOPE_SYS
	s_wait_storecnt 0x0
	s_wait_xcnt 0x0
	global_atomic_cmpswap_b64 v[10:11], v45, v[14:17], s[2:3] offset:24 th:TH_ATOMIC_RETURN scope:SCOPE_SYS
	s_wait_loadcnt 0x0
	v_cmp_ne_u64_e32 vcc_lo, v[10:11], v[16:17]
	s_and_b32 exec_lo, exec_lo, vcc_lo
	s_cbranch_execz .LBB2_68
; %bb.66:                               ;   in Loop: Header=BB2_41 Depth=3
	s_mov_b32 s4, 0
.LBB2_67:                               ;   Parent Loop BB2_13 Depth=1
                                        ;     Parent Loop BB2_27 Depth=2
                                        ;       Parent Loop BB2_41 Depth=3
                                        ; =>      This Inner Loop Header: Depth=4
	v_dual_mov_b32 v8, s0 :: v_dual_mov_b32 v9, s1
	s_sleep 1
	global_store_b64 v[12:13], v[10:11], off
	global_wb scope:SCOPE_SYS
	s_wait_storecnt 0x0
	s_wait_xcnt 0x0
	global_atomic_cmpswap_b64 v[8:9], v45, v[8:11], s[2:3] offset:24 th:TH_ATOMIC_RETURN scope:SCOPE_SYS
	s_wait_loadcnt 0x0
	v_cmp_eq_u64_e32 vcc_lo, v[8:9], v[10:11]
	v_mov_b64_e32 v[10:11], v[8:9]
	s_or_b32 s4, vcc_lo, s4
	s_delay_alu instid0(SALU_CYCLE_1)
	s_and_not1_b32 exec_lo, exec_lo, s4
	s_cbranch_execnz .LBB2_67
.LBB2_68:                               ;   in Loop: Header=BB2_41 Depth=3
	s_or_b32 exec_lo, exec_lo, s6
	s_delay_alu instid0(SALU_CYCLE_1)
	s_and_b32 vcc_lo, exec_lo, s59
	s_cbranch_vccz .LBB2_147
; %bb.69:                               ;   in Loop: Header=BB2_41 Depth=3
	s_wait_loadcnt 0x0
	v_dual_mov_b32 v9, v7 :: v_dual_bitop2_b32 v8, -3, v6 bitop3:0x40
	s_mov_b64 s[4:5], 45
	s_mov_b64 s[6:7], s[38:39]
	s_branch .LBB2_71
.LBB2_70:                               ;   in Loop: Header=BB2_71 Depth=4
	s_or_b32 exec_lo, exec_lo, s14
	s_sub_nc_u64 s[4:5], s[4:5], s[10:11]
	s_add_nc_u64 s[6:7], s[6:7], s[10:11]
	s_cmp_lg_u64 s[4:5], 0
	s_cbranch_scc0 .LBB2_146
.LBB2_71:                               ;   Parent Loop BB2_13 Depth=1
                                        ;     Parent Loop BB2_27 Depth=2
                                        ;       Parent Loop BB2_41 Depth=3
                                        ; =>      This Loop Header: Depth=4
                                        ;           Child Loop BB2_74 Depth 5
                                        ;           Child Loop BB2_81 Depth 5
	;; [unrolled: 1-line block ×11, first 2 shown]
	s_wait_loadcnt 0x0
	v_min_u64 v[10:11], s[4:5], 56
	v_cmp_gt_u64_e64 s0, s[4:5], 7
	s_and_b32 vcc_lo, exec_lo, s0
	v_readfirstlane_b32 s10, v10
	v_readfirstlane_b32 s11, v11
	s_cbranch_vccnz .LBB2_76
; %bb.72:                               ;   in Loop: Header=BB2_71 Depth=4
	v_mov_b64_e32 v[10:11], 0
	s_cmp_eq_u64 s[4:5], 0
	s_cbranch_scc1 .LBB2_75
; %bb.73:                               ;   in Loop: Header=BB2_71 Depth=4
	s_mov_b64 s[0:1], 0
	s_mov_b64 s[12:13], 0
.LBB2_74:                               ;   Parent Loop BB2_13 Depth=1
                                        ;     Parent Loop BB2_27 Depth=2
                                        ;       Parent Loop BB2_41 Depth=3
                                        ;         Parent Loop BB2_71 Depth=4
                                        ; =>        This Inner Loop Header: Depth=5
	s_wait_xcnt 0x0
	s_add_nc_u64 s[14:15], s[6:7], s[12:13]
	s_add_nc_u64 s[12:13], s[12:13], 1
	global_load_u8 v3, v45, s[14:15]
	s_cmp_lg_u32 s10, s12
	s_wait_loadcnt 0x0
	v_and_b32_e32 v44, 0xffff, v3
	s_delay_alu instid0(VALU_DEP_1) | instskip(SKIP_1) | instid1(VALU_DEP_1)
	v_lshlrev_b64_e32 v[12:13], s0, v[44:45]
	s_add_nc_u64 s[0:1], s[0:1], 8
	v_or_b32_e32 v10, v12, v10
	s_delay_alu instid0(VALU_DEP_2)
	v_or_b32_e32 v11, v13, v11
	s_cbranch_scc1 .LBB2_74
.LBB2_75:                               ;   in Loop: Header=BB2_71 Depth=4
	s_mov_b64 s[0:1], s[6:7]
	s_mov_b32 s17, 0
	s_cbranch_execz .LBB2_77
	s_branch .LBB2_78
.LBB2_76:                               ;   in Loop: Header=BB2_71 Depth=4
	s_add_nc_u64 s[0:1], s[6:7], 8
	s_mov_b32 s17, 0
.LBB2_77:                               ;   in Loop: Header=BB2_71 Depth=4
	global_load_b64 v[10:11], v45, s[6:7]
	s_add_co_i32 s17, s10, -8
.LBB2_78:                               ;   in Loop: Header=BB2_71 Depth=4
	s_delay_alu instid0(SALU_CYCLE_1)
	s_cmp_gt_u32 s17, 7
	s_cbranch_scc1 .LBB2_83
; %bb.79:                               ;   in Loop: Header=BB2_71 Depth=4
	v_mov_b64_e32 v[12:13], 0
	s_cmp_eq_u32 s17, 0
	s_cbranch_scc1 .LBB2_82
; %bb.80:                               ;   in Loop: Header=BB2_71 Depth=4
	s_mov_b64 s[12:13], 0
	s_wait_xcnt 0x0
	s_mov_b64 s[14:15], 0
.LBB2_81:                               ;   Parent Loop BB2_13 Depth=1
                                        ;     Parent Loop BB2_27 Depth=2
                                        ;       Parent Loop BB2_41 Depth=3
                                        ;         Parent Loop BB2_71 Depth=4
                                        ; =>        This Inner Loop Header: Depth=5
	s_wait_xcnt 0x0
	s_add_nc_u64 s[18:19], s[0:1], s[14:15]
	s_add_nc_u64 s[14:15], s[14:15], 1
	global_load_u8 v3, v45, s[18:19]
	s_cmp_lg_u32 s17, s14
	s_wait_loadcnt 0x0
	v_and_b32_e32 v44, 0xffff, v3
	s_delay_alu instid0(VALU_DEP_1) | instskip(SKIP_1) | instid1(VALU_DEP_1)
	v_lshlrev_b64_e32 v[14:15], s12, v[44:45]
	s_add_nc_u64 s[12:13], s[12:13], 8
	v_or_b32_e32 v12, v14, v12
	s_delay_alu instid0(VALU_DEP_2)
	v_or_b32_e32 v13, v15, v13
	s_cbranch_scc1 .LBB2_81
.LBB2_82:                               ;   in Loop: Header=BB2_71 Depth=4
	s_wait_xcnt 0x0
	s_mov_b64 s[12:13], s[0:1]
	s_mov_b32 s18, 0
	s_cbranch_execz .LBB2_84
	s_branch .LBB2_85
.LBB2_83:                               ;   in Loop: Header=BB2_71 Depth=4
	s_add_nc_u64 s[12:13], s[0:1], 8
	s_wait_xcnt 0x0
                                        ; implicit-def: $vgpr12_vgpr13
	s_mov_b32 s18, 0
.LBB2_84:                               ;   in Loop: Header=BB2_71 Depth=4
	global_load_b64 v[12:13], v45, s[0:1]
	s_add_co_i32 s18, s17, -8
.LBB2_85:                               ;   in Loop: Header=BB2_71 Depth=4
	s_delay_alu instid0(SALU_CYCLE_1)
	s_cmp_gt_u32 s18, 7
	s_cbranch_scc1 .LBB2_90
; %bb.86:                               ;   in Loop: Header=BB2_71 Depth=4
	v_mov_b64_e32 v[14:15], 0
	s_cmp_eq_u32 s18, 0
	s_cbranch_scc1 .LBB2_89
; %bb.87:                               ;   in Loop: Header=BB2_71 Depth=4
	s_wait_xcnt 0x0
	s_mov_b64 s[0:1], 0
	s_mov_b64 s[14:15], 0
.LBB2_88:                               ;   Parent Loop BB2_13 Depth=1
                                        ;     Parent Loop BB2_27 Depth=2
                                        ;       Parent Loop BB2_41 Depth=3
                                        ;         Parent Loop BB2_71 Depth=4
                                        ; =>        This Inner Loop Header: Depth=5
	s_wait_xcnt 0x0
	s_add_nc_u64 s[20:21], s[12:13], s[14:15]
	s_add_nc_u64 s[14:15], s[14:15], 1
	global_load_u8 v3, v45, s[20:21]
	s_cmp_lg_u32 s18, s14
	s_wait_loadcnt 0x0
	v_and_b32_e32 v44, 0xffff, v3
	s_delay_alu instid0(VALU_DEP_1) | instskip(SKIP_1) | instid1(VALU_DEP_1)
	v_lshlrev_b64_e32 v[16:17], s0, v[44:45]
	s_add_nc_u64 s[0:1], s[0:1], 8
	v_or_b32_e32 v14, v16, v14
	s_delay_alu instid0(VALU_DEP_2)
	v_or_b32_e32 v15, v17, v15
	s_cbranch_scc1 .LBB2_88
.LBB2_89:                               ;   in Loop: Header=BB2_71 Depth=4
	s_wait_xcnt 0x0
	s_mov_b64 s[0:1], s[12:13]
	s_mov_b32 s17, 0
	s_cbranch_execz .LBB2_91
	s_branch .LBB2_92
.LBB2_90:                               ;   in Loop: Header=BB2_71 Depth=4
	s_wait_xcnt 0x0
	s_add_nc_u64 s[0:1], s[12:13], 8
	s_mov_b32 s17, 0
.LBB2_91:                               ;   in Loop: Header=BB2_71 Depth=4
	global_load_b64 v[14:15], v45, s[12:13]
	s_add_co_i32 s17, s18, -8
.LBB2_92:                               ;   in Loop: Header=BB2_71 Depth=4
	s_delay_alu instid0(SALU_CYCLE_1)
	s_cmp_gt_u32 s17, 7
	s_cbranch_scc1 .LBB2_97
; %bb.93:                               ;   in Loop: Header=BB2_71 Depth=4
	v_mov_b64_e32 v[16:17], 0
	s_cmp_eq_u32 s17, 0
	s_cbranch_scc1 .LBB2_96
; %bb.94:                               ;   in Loop: Header=BB2_71 Depth=4
	s_wait_xcnt 0x0
	s_mov_b64 s[12:13], 0
	s_mov_b64 s[14:15], 0
.LBB2_95:                               ;   Parent Loop BB2_13 Depth=1
                                        ;     Parent Loop BB2_27 Depth=2
                                        ;       Parent Loop BB2_41 Depth=3
                                        ;         Parent Loop BB2_71 Depth=4
                                        ; =>        This Inner Loop Header: Depth=5
	s_wait_xcnt 0x0
	s_add_nc_u64 s[18:19], s[0:1], s[14:15]
	s_add_nc_u64 s[14:15], s[14:15], 1
	global_load_u8 v3, v45, s[18:19]
	s_cmp_lg_u32 s17, s14
	s_wait_loadcnt 0x0
	v_and_b32_e32 v44, 0xffff, v3
	s_delay_alu instid0(VALU_DEP_1) | instskip(SKIP_1) | instid1(VALU_DEP_1)
	v_lshlrev_b64_e32 v[18:19], s12, v[44:45]
	s_add_nc_u64 s[12:13], s[12:13], 8
	v_or_b32_e32 v16, v18, v16
	s_delay_alu instid0(VALU_DEP_2)
	v_or_b32_e32 v17, v19, v17
	s_cbranch_scc1 .LBB2_95
.LBB2_96:                               ;   in Loop: Header=BB2_71 Depth=4
	s_wait_xcnt 0x0
	s_mov_b64 s[12:13], s[0:1]
	s_mov_b32 s18, 0
	s_cbranch_execz .LBB2_98
	s_branch .LBB2_99
.LBB2_97:                               ;   in Loop: Header=BB2_71 Depth=4
	s_wait_xcnt 0x0
	s_add_nc_u64 s[12:13], s[0:1], 8
                                        ; implicit-def: $vgpr16_vgpr17
	s_mov_b32 s18, 0
.LBB2_98:                               ;   in Loop: Header=BB2_71 Depth=4
	global_load_b64 v[16:17], v45, s[0:1]
	s_add_co_i32 s18, s17, -8
.LBB2_99:                               ;   in Loop: Header=BB2_71 Depth=4
	s_delay_alu instid0(SALU_CYCLE_1)
	s_cmp_gt_u32 s18, 7
	s_cbranch_scc1 .LBB2_104
; %bb.100:                              ;   in Loop: Header=BB2_71 Depth=4
	v_mov_b64_e32 v[18:19], 0
	s_cmp_eq_u32 s18, 0
	s_cbranch_scc1 .LBB2_103
; %bb.101:                              ;   in Loop: Header=BB2_71 Depth=4
	s_wait_xcnt 0x0
	s_mov_b64 s[0:1], 0
	s_mov_b64 s[14:15], 0
.LBB2_102:                              ;   Parent Loop BB2_13 Depth=1
                                        ;     Parent Loop BB2_27 Depth=2
                                        ;       Parent Loop BB2_41 Depth=3
                                        ;         Parent Loop BB2_71 Depth=4
                                        ; =>        This Inner Loop Header: Depth=5
	s_wait_xcnt 0x0
	s_add_nc_u64 s[20:21], s[12:13], s[14:15]
	s_add_nc_u64 s[14:15], s[14:15], 1
	global_load_u8 v3, v45, s[20:21]
	s_cmp_lg_u32 s18, s14
	s_wait_loadcnt 0x0
	v_and_b32_e32 v44, 0xffff, v3
	s_delay_alu instid0(VALU_DEP_1) | instskip(SKIP_1) | instid1(VALU_DEP_1)
	v_lshlrev_b64_e32 v[20:21], s0, v[44:45]
	s_add_nc_u64 s[0:1], s[0:1], 8
	v_or_b32_e32 v18, v20, v18
	s_delay_alu instid0(VALU_DEP_2)
	v_or_b32_e32 v19, v21, v19
	s_cbranch_scc1 .LBB2_102
.LBB2_103:                              ;   in Loop: Header=BB2_71 Depth=4
	s_wait_xcnt 0x0
	s_mov_b64 s[0:1], s[12:13]
	s_mov_b32 s17, 0
	s_cbranch_execz .LBB2_105
	s_branch .LBB2_106
.LBB2_104:                              ;   in Loop: Header=BB2_71 Depth=4
	s_wait_xcnt 0x0
	s_add_nc_u64 s[0:1], s[12:13], 8
	s_mov_b32 s17, 0
.LBB2_105:                              ;   in Loop: Header=BB2_71 Depth=4
	global_load_b64 v[18:19], v45, s[12:13]
	s_add_co_i32 s17, s18, -8
.LBB2_106:                              ;   in Loop: Header=BB2_71 Depth=4
	s_delay_alu instid0(SALU_CYCLE_1)
	s_cmp_gt_u32 s17, 7
	s_cbranch_scc1 .LBB2_111
; %bb.107:                              ;   in Loop: Header=BB2_71 Depth=4
	v_mov_b64_e32 v[20:21], 0
	s_cmp_eq_u32 s17, 0
	s_cbranch_scc1 .LBB2_110
; %bb.108:                              ;   in Loop: Header=BB2_71 Depth=4
	s_wait_xcnt 0x0
	s_mov_b64 s[12:13], 0
	s_mov_b64 s[14:15], 0
.LBB2_109:                              ;   Parent Loop BB2_13 Depth=1
                                        ;     Parent Loop BB2_27 Depth=2
                                        ;       Parent Loop BB2_41 Depth=3
                                        ;         Parent Loop BB2_71 Depth=4
                                        ; =>        This Inner Loop Header: Depth=5
	s_wait_xcnt 0x0
	s_add_nc_u64 s[18:19], s[0:1], s[14:15]
	s_add_nc_u64 s[14:15], s[14:15], 1
	global_load_u8 v3, v45, s[18:19]
	s_cmp_lg_u32 s17, s14
	s_wait_loadcnt 0x0
	v_and_b32_e32 v44, 0xffff, v3
	s_delay_alu instid0(VALU_DEP_1) | instskip(SKIP_1) | instid1(VALU_DEP_1)
	v_lshlrev_b64_e32 v[22:23], s12, v[44:45]
	s_add_nc_u64 s[12:13], s[12:13], 8
	v_or_b32_e32 v20, v22, v20
	s_delay_alu instid0(VALU_DEP_2)
	v_or_b32_e32 v21, v23, v21
	s_cbranch_scc1 .LBB2_109
.LBB2_110:                              ;   in Loop: Header=BB2_71 Depth=4
	s_wait_xcnt 0x0
	s_mov_b64 s[12:13], s[0:1]
	s_mov_b32 s18, 0
	s_cbranch_execz .LBB2_112
	s_branch .LBB2_113
.LBB2_111:                              ;   in Loop: Header=BB2_71 Depth=4
	s_wait_xcnt 0x0
	s_add_nc_u64 s[12:13], s[0:1], 8
                                        ; implicit-def: $vgpr20_vgpr21
	s_mov_b32 s18, 0
.LBB2_112:                              ;   in Loop: Header=BB2_71 Depth=4
	global_load_b64 v[20:21], v45, s[0:1]
	s_add_co_i32 s18, s17, -8
.LBB2_113:                              ;   in Loop: Header=BB2_71 Depth=4
	s_delay_alu instid0(SALU_CYCLE_1)
	s_cmp_gt_u32 s18, 7
	s_cbranch_scc1 .LBB2_118
; %bb.114:                              ;   in Loop: Header=BB2_71 Depth=4
	v_mov_b64_e32 v[22:23], 0
	s_cmp_eq_u32 s18, 0
	s_cbranch_scc1 .LBB2_117
; %bb.115:                              ;   in Loop: Header=BB2_71 Depth=4
	s_wait_xcnt 0x0
	s_mov_b64 s[0:1], 0
	s_mov_b64 s[14:15], s[12:13]
.LBB2_116:                              ;   Parent Loop BB2_13 Depth=1
                                        ;     Parent Loop BB2_27 Depth=2
                                        ;       Parent Loop BB2_41 Depth=3
                                        ;         Parent Loop BB2_71 Depth=4
                                        ; =>        This Inner Loop Header: Depth=5
	global_load_u8 v3, v45, s[14:15]
	s_add_co_i32 s18, s18, -1
	s_wait_xcnt 0x0
	s_add_nc_u64 s[14:15], s[14:15], 1
	s_cmp_lg_u32 s18, 0
	s_wait_loadcnt 0x0
	v_and_b32_e32 v44, 0xffff, v3
	s_delay_alu instid0(VALU_DEP_1) | instskip(SKIP_1) | instid1(VALU_DEP_1)
	v_lshlrev_b64_e32 v[24:25], s0, v[44:45]
	s_add_nc_u64 s[0:1], s[0:1], 8
	v_or_b32_e32 v22, v24, v22
	s_delay_alu instid0(VALU_DEP_2)
	v_or_b32_e32 v23, v25, v23
	s_cbranch_scc1 .LBB2_116
.LBB2_117:                              ;   in Loop: Header=BB2_71 Depth=4
	s_wait_xcnt 0x0
	s_cbranch_execz .LBB2_119
	s_branch .LBB2_120
.LBB2_118:                              ;   in Loop: Header=BB2_71 Depth=4
	s_wait_xcnt 0x0
.LBB2_119:                              ;   in Loop: Header=BB2_71 Depth=4
	global_load_b64 v[22:23], v45, s[12:13]
.LBB2_120:                              ;   in Loop: Header=BB2_71 Depth=4
	v_readfirstlane_b32 s0, v100
	v_mov_b64_e32 v[30:31], 0
	s_delay_alu instid0(VALU_DEP_2)
	v_cmp_eq_u32_e64 s0, s0, v100
	s_wait_xcnt 0x0
	s_and_saveexec_b32 s1, s0
	s_cbranch_execz .LBB2_126
; %bb.121:                              ;   in Loop: Header=BB2_71 Depth=4
	global_load_b64 v[26:27], v45, s[2:3] offset:24 scope:SCOPE_SYS
	s_wait_loadcnt 0x0
	global_inv scope:SCOPE_SYS
	s_clause 0x1
	global_load_b64 v[24:25], v45, s[2:3] offset:40
	global_load_b64 v[30:31], v45, s[2:3]
	s_mov_b32 s12, exec_lo
	s_wait_loadcnt 0x1
	v_and_b32_e32 v24, v24, v26
	v_and_b32_e32 v25, v25, v27
	s_delay_alu instid0(VALU_DEP_1) | instskip(SKIP_1) | instid1(VALU_DEP_1)
	v_mul_u64_e32 v[24:25], 24, v[24:25]
	s_wait_loadcnt 0x0
	v_add_nc_u64_e32 v[24:25], v[30:31], v[24:25]
	global_load_b64 v[24:25], v[24:25], off scope:SCOPE_SYS
	s_wait_xcnt 0x0
	s_wait_loadcnt 0x0
	global_atomic_cmpswap_b64 v[30:31], v45, v[24:27], s[2:3] offset:24 th:TH_ATOMIC_RETURN scope:SCOPE_SYS
	s_wait_loadcnt 0x0
	global_inv scope:SCOPE_SYS
	s_wait_xcnt 0x0
	v_cmpx_ne_u64_e64 v[30:31], v[26:27]
	s_cbranch_execz .LBB2_125
; %bb.122:                              ;   in Loop: Header=BB2_71 Depth=4
	s_mov_b32 s13, 0
.LBB2_123:                              ;   Parent Loop BB2_13 Depth=1
                                        ;     Parent Loop BB2_27 Depth=2
                                        ;       Parent Loop BB2_41 Depth=3
                                        ;         Parent Loop BB2_71 Depth=4
                                        ; =>        This Inner Loop Header: Depth=5
	s_sleep 1
	s_clause 0x1
	global_load_b64 v[24:25], v45, s[2:3] offset:40
	global_load_b64 v[32:33], v45, s[2:3]
	v_mov_b64_e32 v[26:27], v[30:31]
	s_wait_loadcnt 0x1
	s_delay_alu instid0(VALU_DEP_1) | instskip(SKIP_1) | instid1(VALU_DEP_1)
	v_and_b32_e32 v3, v24, v26
	s_wait_loadcnt 0x0
	v_mad_nc_u64_u32 v[30:31], v3, 24, v[32:33]
	s_delay_alu instid0(VALU_DEP_3) | instskip(NEXT) | instid1(VALU_DEP_1)
	v_and_b32_e32 v3, v25, v27
	v_mad_u32 v31, v3, 24, v31
	global_load_b64 v[24:25], v[30:31], off scope:SCOPE_SYS
	s_wait_xcnt 0x0
	s_wait_loadcnt 0x0
	global_atomic_cmpswap_b64 v[30:31], v45, v[24:27], s[2:3] offset:24 th:TH_ATOMIC_RETURN scope:SCOPE_SYS
	s_wait_loadcnt 0x0
	global_inv scope:SCOPE_SYS
	v_cmp_eq_u64_e32 vcc_lo, v[30:31], v[26:27]
	s_or_b32 s13, vcc_lo, s13
	s_wait_xcnt 0x0
	s_and_not1_b32 exec_lo, exec_lo, s13
	s_cbranch_execnz .LBB2_123
; %bb.124:                              ;   in Loop: Header=BB2_71 Depth=4
	s_or_b32 exec_lo, exec_lo, s13
.LBB2_125:                              ;   in Loop: Header=BB2_71 Depth=4
	s_delay_alu instid0(SALU_CYCLE_1)
	s_or_b32 exec_lo, exec_lo, s12
.LBB2_126:                              ;   in Loop: Header=BB2_71 Depth=4
	s_delay_alu instid0(SALU_CYCLE_1)
	s_or_b32 exec_lo, exec_lo, s1
	s_clause 0x1
	global_load_b64 v[32:33], v45, s[2:3] offset:40
	global_load_b128 v[24:27], v45, s[2:3]
	v_readfirstlane_b32 s12, v30
	v_readfirstlane_b32 s13, v31
	s_mov_b32 s1, exec_lo
	s_wait_loadcnt 0x1
	v_and_b32_e32 v32, s12, v32
	v_and_b32_e32 v33, s13, v33
	s_delay_alu instid0(VALU_DEP_1) | instskip(SKIP_1) | instid1(VALU_DEP_1)
	v_mul_u64_e32 v[30:31], 24, v[32:33]
	s_wait_loadcnt 0x0
	v_add_nc_u64_e32 v[30:31], v[24:25], v[30:31]
	s_wait_xcnt 0x0
	s_and_saveexec_b32 s14, s0
	s_cbranch_execz .LBB2_128
; %bb.127:                              ;   in Loop: Header=BB2_71 Depth=4
	v_mov_b32_e32 v44, s1
	global_store_b128 v[30:31], v[44:47], off offset:8
.LBB2_128:                              ;   in Loop: Header=BB2_71 Depth=4
	s_wait_xcnt 0x0
	s_or_b32 exec_lo, exec_lo, s14
	v_cmp_gt_u64_e64 s1, s[4:5], 56
	v_lshlrev_b64_e32 v[32:33], 12, v[32:33]
	v_and_b32_e32 v3, 0xffffff1f, v8
	s_and_b32 s1, s1, exec_lo
	s_delay_alu instid0(VALU_DEP_2) | instskip(SKIP_4) | instid1(VALU_DEP_2)
	v_add_nc_u64_e32 v[26:27], v[26:27], v[32:33]
	s_cselect_b32 s1, 0, 2
	s_lshl_b32 s14, s10, 2
	v_or_b32_e32 v3, s1, v3
	s_add_co_i32 s1, s14, 28
	v_readfirstlane_b32 s14, v26
	s_delay_alu instid0(VALU_DEP_3) | instskip(NEXT) | instid1(VALU_DEP_3)
	v_readfirstlane_b32 s15, v27
	v_and_or_b32 v8, 0x1e0, s1, v3
	s_clause 0x3
	global_store_b128 v28, v[8:11], s[14:15]
	global_store_b128 v28, v[12:15], s[14:15] offset:16
	global_store_b128 v28, v[16:19], s[14:15] offset:32
	;; [unrolled: 1-line block ×3, first 2 shown]
	s_wait_xcnt 0x0
	s_and_saveexec_b32 s1, s0
	s_cbranch_execz .LBB2_136
; %bb.129:                              ;   in Loop: Header=BB2_71 Depth=4
	s_clause 0x1
	global_load_b64 v[16:17], v45, s[2:3] offset:32 scope:SCOPE_SYS
	global_load_b64 v[8:9], v45, s[2:3] offset:40
	s_mov_b32 s14, exec_lo
	v_dual_mov_b32 v14, s12 :: v_dual_mov_b32 v15, s13
	s_wait_loadcnt 0x0
	v_and_b32_e32 v9, s13, v9
	v_and_b32_e32 v8, s12, v8
	s_delay_alu instid0(VALU_DEP_1) | instskip(NEXT) | instid1(VALU_DEP_1)
	v_mul_u64_e32 v[8:9], 24, v[8:9]
	v_add_nc_u64_e32 v[12:13], v[24:25], v[8:9]
	global_store_b64 v[12:13], v[16:17], off
	global_wb scope:SCOPE_SYS
	s_wait_storecnt 0x0
	s_wait_xcnt 0x0
	global_atomic_cmpswap_b64 v[10:11], v45, v[14:17], s[2:3] offset:32 th:TH_ATOMIC_RETURN scope:SCOPE_SYS
	s_wait_loadcnt 0x0
	v_cmpx_ne_u64_e64 v[10:11], v[16:17]
	s_cbranch_execz .LBB2_132
; %bb.130:                              ;   in Loop: Header=BB2_71 Depth=4
	s_mov_b32 s15, 0
.LBB2_131:                              ;   Parent Loop BB2_13 Depth=1
                                        ;     Parent Loop BB2_27 Depth=2
                                        ;       Parent Loop BB2_41 Depth=3
                                        ;         Parent Loop BB2_71 Depth=4
                                        ; =>        This Inner Loop Header: Depth=5
	v_dual_mov_b32 v8, s12 :: v_dual_mov_b32 v9, s13
	s_sleep 1
	global_store_b64 v[12:13], v[10:11], off
	global_wb scope:SCOPE_SYS
	s_wait_storecnt 0x0
	s_wait_xcnt 0x0
	global_atomic_cmpswap_b64 v[8:9], v45, v[8:11], s[2:3] offset:32 th:TH_ATOMIC_RETURN scope:SCOPE_SYS
	s_wait_loadcnt 0x0
	v_cmp_eq_u64_e32 vcc_lo, v[8:9], v[10:11]
	v_mov_b64_e32 v[10:11], v[8:9]
	s_or_b32 s15, vcc_lo, s15
	s_delay_alu instid0(SALU_CYCLE_1)
	s_and_not1_b32 exec_lo, exec_lo, s15
	s_cbranch_execnz .LBB2_131
.LBB2_132:                              ;   in Loop: Header=BB2_71 Depth=4
	s_or_b32 exec_lo, exec_lo, s14
	global_load_b64 v[8:9], v45, s[2:3] offset:16
	s_mov_b32 s15, exec_lo
	s_mov_b32 s14, exec_lo
	v_mbcnt_lo_u32_b32 v3, s15, 0
	s_wait_xcnt 0x0
	s_delay_alu instid0(VALU_DEP_1)
	v_cmpx_eq_u32_e32 0, v3
	s_cbranch_execz .LBB2_134
; %bb.133:                              ;   in Loop: Header=BB2_71 Depth=4
	s_bcnt1_i32_b32 s15, s15
	s_delay_alu instid0(SALU_CYCLE_1)
	v_mov_b32_e32 v44, s15
	global_wb scope:SCOPE_SYS
	s_wait_loadcnt 0x0
	s_wait_storecnt 0x0
	global_atomic_add_u64 v[8:9], v[44:45], off offset:8 scope:SCOPE_SYS
.LBB2_134:                              ;   in Loop: Header=BB2_71 Depth=4
	s_wait_xcnt 0x0
	s_or_b32 exec_lo, exec_lo, s14
	s_wait_loadcnt 0x0
	global_load_b64 v[10:11], v[8:9], off offset:16
	s_wait_loadcnt 0x0
	v_cmp_eq_u64_e32 vcc_lo, 0, v[10:11]
	s_cbranch_vccnz .LBB2_136
; %bb.135:                              ;   in Loop: Header=BB2_71 Depth=4
	global_load_b32 v44, v[8:9], off offset:24
	s_wait_loadcnt 0x0
	v_readfirstlane_b32 s14, v44
	global_wb scope:SCOPE_SYS
	s_wait_storecnt 0x0
	s_wait_xcnt 0x0
	global_store_b64 v[10:11], v[44:45], off scope:SCOPE_SYS
	s_and_b32 m0, s14, 0xffffff
	s_sendmsg sendmsg(MSG_INTERRUPT)
.LBB2_136:                              ;   in Loop: Header=BB2_71 Depth=4
	s_wait_xcnt 0x0
	s_or_b32 exec_lo, exec_lo, s1
	v_mov_b32_e32 v29, v45
	s_delay_alu instid0(VALU_DEP_1)
	v_add_nc_u64_e32 v[8:9], v[26:27], v[28:29]
	s_branch .LBB2_140
.LBB2_137:                              ;   in Loop: Header=BB2_140 Depth=5
	s_wait_xcnt 0x0
	s_or_b32 exec_lo, exec_lo, s1
	s_delay_alu instid0(VALU_DEP_1)
	v_readfirstlane_b32 s1, v3
	s_cmp_eq_u32 s1, 0
	s_cbranch_scc1 .LBB2_139
; %bb.138:                              ;   in Loop: Header=BB2_140 Depth=5
	s_sleep 1
	s_cbranch_execnz .LBB2_140
	s_branch .LBB2_142
.LBB2_139:                              ;   in Loop: Header=BB2_71 Depth=4
	s_branch .LBB2_142
.LBB2_140:                              ;   Parent Loop BB2_13 Depth=1
                                        ;     Parent Loop BB2_27 Depth=2
                                        ;       Parent Loop BB2_41 Depth=3
                                        ;         Parent Loop BB2_71 Depth=4
                                        ; =>        This Inner Loop Header: Depth=5
	v_mov_b32_e32 v3, 1
	s_and_saveexec_b32 s1, s0
	s_cbranch_execz .LBB2_137
; %bb.141:                              ;   in Loop: Header=BB2_140 Depth=5
	global_load_b32 v3, v[30:31], off offset:20 scope:SCOPE_SYS
	s_wait_loadcnt 0x0
	global_inv scope:SCOPE_SYS
	v_and_b32_e32 v3, 1, v3
	s_branch .LBB2_137
.LBB2_142:                              ;   in Loop: Header=BB2_71 Depth=4
	global_load_b128 v[8:11], v[8:9], off
	s_wait_xcnt 0x0
	s_and_saveexec_b32 s14, s0
	s_cbranch_execz .LBB2_70
; %bb.143:                              ;   in Loop: Header=BB2_71 Depth=4
	s_wait_loadcnt 0x0
	s_clause 0x2
	global_load_b64 v[10:11], v45, s[2:3] offset:40
	global_load_b64 v[18:19], v45, s[2:3] offset:24 scope:SCOPE_SYS
	global_load_b64 v[12:13], v45, s[2:3]
	s_wait_loadcnt 0x2
	v_readfirstlane_b32 s18, v10
	v_readfirstlane_b32 s19, v11
	s_add_nc_u64 s[0:1], s[18:19], 1
	s_delay_alu instid0(SALU_CYCLE_1) | instskip(NEXT) | instid1(SALU_CYCLE_1)
	s_add_nc_u64 s[12:13], s[0:1], s[12:13]
	s_cmp_eq_u64 s[12:13], 0
	s_cselect_b32 s1, s1, s13
	s_cselect_b32 s0, s0, s12
	s_delay_alu instid0(SALU_CYCLE_1) | instskip(SKIP_1) | instid1(SALU_CYCLE_1)
	v_dual_mov_b32 v17, s1 :: v_dual_mov_b32 v16, s0
	s_and_b64 s[12:13], s[0:1], s[18:19]
	s_mul_u64 s[12:13], s[12:13], 24
	s_wait_loadcnt 0x0
	v_add_nc_u64_e32 v[14:15], s[12:13], v[12:13]
	global_store_b64 v[14:15], v[18:19], off
	global_wb scope:SCOPE_SYS
	s_wait_storecnt 0x0
	s_wait_xcnt 0x0
	global_atomic_cmpswap_b64 v[12:13], v45, v[16:19], s[2:3] offset:24 th:TH_ATOMIC_RETURN scope:SCOPE_SYS
	s_wait_loadcnt 0x0
	v_cmp_ne_u64_e32 vcc_lo, v[12:13], v[18:19]
	s_and_b32 exec_lo, exec_lo, vcc_lo
	s_cbranch_execz .LBB2_70
; %bb.144:                              ;   in Loop: Header=BB2_71 Depth=4
	s_mov_b32 s12, 0
.LBB2_145:                              ;   Parent Loop BB2_13 Depth=1
                                        ;     Parent Loop BB2_27 Depth=2
                                        ;       Parent Loop BB2_41 Depth=3
                                        ;         Parent Loop BB2_71 Depth=4
                                        ; =>        This Inner Loop Header: Depth=5
	v_dual_mov_b32 v10, s0 :: v_dual_mov_b32 v11, s1
	s_sleep 1
	global_store_b64 v[14:15], v[12:13], off
	global_wb scope:SCOPE_SYS
	s_wait_storecnt 0x0
	s_wait_xcnt 0x0
	global_atomic_cmpswap_b64 v[10:11], v45, v[10:13], s[2:3] offset:24 th:TH_ATOMIC_RETURN scope:SCOPE_SYS
	s_wait_loadcnt 0x0
	v_cmp_eq_u64_e32 vcc_lo, v[10:11], v[12:13]
	v_mov_b64_e32 v[12:13], v[10:11]
	s_or_b32 s12, vcc_lo, s12
	s_delay_alu instid0(SALU_CYCLE_1)
	s_and_not1_b32 exec_lo, exec_lo, s12
	s_cbranch_execnz .LBB2_145
	s_branch .LBB2_70
.LBB2_146:                              ;   in Loop: Header=BB2_41 Depth=3
	s_branch .LBB2_174
.LBB2_147:                              ;   in Loop: Header=BB2_41 Depth=3
	s_cbranch_execz .LBB2_174
; %bb.148:                              ;   in Loop: Header=BB2_41 Depth=3
	v_readfirstlane_b32 s0, v100
	s_wait_loadcnt 0x0
	v_mov_b64_e32 v[8:9], 0
	s_delay_alu instid0(VALU_DEP_2)
	v_cmp_eq_u32_e64 s0, s0, v100
	s_and_saveexec_b32 s1, s0
	s_cbranch_execz .LBB2_154
; %bb.149:                              ;   in Loop: Header=BB2_41 Depth=3
	global_load_b64 v[10:11], v45, s[2:3] offset:24 scope:SCOPE_SYS
	s_wait_loadcnt 0x0
	global_inv scope:SCOPE_SYS
	s_clause 0x1
	global_load_b64 v[8:9], v45, s[2:3] offset:40
	global_load_b64 v[12:13], v45, s[2:3]
	s_mov_b32 s4, exec_lo
	s_wait_loadcnt 0x1
	v_and_b32_e32 v8, v8, v10
	v_and_b32_e32 v9, v9, v11
	s_delay_alu instid0(VALU_DEP_1) | instskip(SKIP_1) | instid1(VALU_DEP_1)
	v_mul_u64_e32 v[8:9], 24, v[8:9]
	s_wait_loadcnt 0x0
	v_add_nc_u64_e32 v[8:9], v[12:13], v[8:9]
	global_load_b64 v[8:9], v[8:9], off scope:SCOPE_SYS
	s_wait_xcnt 0x0
	s_wait_loadcnt 0x0
	global_atomic_cmpswap_b64 v[8:9], v45, v[8:11], s[2:3] offset:24 th:TH_ATOMIC_RETURN scope:SCOPE_SYS
	s_wait_loadcnt 0x0
	global_inv scope:SCOPE_SYS
	s_wait_xcnt 0x0
	v_cmpx_ne_u64_e64 v[8:9], v[10:11]
	s_cbranch_execz .LBB2_153
; %bb.150:                              ;   in Loop: Header=BB2_41 Depth=3
	s_mov_b32 s5, 0
.LBB2_151:                              ;   Parent Loop BB2_13 Depth=1
                                        ;     Parent Loop BB2_27 Depth=2
                                        ;       Parent Loop BB2_41 Depth=3
                                        ; =>      This Inner Loop Header: Depth=4
	s_sleep 1
	s_clause 0x1
	global_load_b64 v[12:13], v45, s[2:3] offset:40
	global_load_b64 v[14:15], v45, s[2:3]
	v_mov_b64_e32 v[10:11], v[8:9]
	s_wait_loadcnt 0x1
	s_delay_alu instid0(VALU_DEP_1) | instskip(SKIP_1) | instid1(VALU_DEP_1)
	v_and_b32_e32 v3, v12, v10
	s_wait_loadcnt 0x0
	v_mad_nc_u64_u32 v[8:9], v3, 24, v[14:15]
	s_delay_alu instid0(VALU_DEP_3) | instskip(NEXT) | instid1(VALU_DEP_1)
	v_and_b32_e32 v3, v13, v11
	v_mad_u32 v9, v3, 24, v9
	global_load_b64 v[8:9], v[8:9], off scope:SCOPE_SYS
	s_wait_xcnt 0x0
	s_wait_loadcnt 0x0
	global_atomic_cmpswap_b64 v[8:9], v45, v[8:11], s[2:3] offset:24 th:TH_ATOMIC_RETURN scope:SCOPE_SYS
	s_wait_loadcnt 0x0
	global_inv scope:SCOPE_SYS
	v_cmp_eq_u64_e32 vcc_lo, v[8:9], v[10:11]
	s_or_b32 s5, vcc_lo, s5
	s_wait_xcnt 0x0
	s_and_not1_b32 exec_lo, exec_lo, s5
	s_cbranch_execnz .LBB2_151
; %bb.152:                              ;   in Loop: Header=BB2_41 Depth=3
	s_or_b32 exec_lo, exec_lo, s5
.LBB2_153:                              ;   in Loop: Header=BB2_41 Depth=3
	s_delay_alu instid0(SALU_CYCLE_1)
	s_or_b32 exec_lo, exec_lo, s4
.LBB2_154:                              ;   in Loop: Header=BB2_41 Depth=3
	s_delay_alu instid0(SALU_CYCLE_1)
	s_or_b32 exec_lo, exec_lo, s1
	s_clause 0x1
	global_load_b64 v[14:15], v45, s[2:3] offset:40
	global_load_b128 v[10:13], v45, s[2:3]
	v_readfirstlane_b32 s4, v8
	v_readfirstlane_b32 s5, v9
	s_mov_b32 s1, exec_lo
	s_wait_loadcnt 0x1
	v_and_b32_e32 v8, s4, v14
	v_and_b32_e32 v9, s5, v15
	s_delay_alu instid0(VALU_DEP_1) | instskip(SKIP_1) | instid1(VALU_DEP_1)
	v_mul_u64_e32 v[14:15], 24, v[8:9]
	s_wait_loadcnt 0x0
	v_add_nc_u64_e32 v[14:15], v[10:11], v[14:15]
	s_wait_xcnt 0x0
	s_and_saveexec_b32 s6, s0
	s_cbranch_execz .LBB2_156
; %bb.155:                              ;   in Loop: Header=BB2_41 Depth=3
	v_mov_b32_e32 v44, s1
	global_store_b128 v[14:15], v[44:47], off offset:8
.LBB2_156:                              ;   in Loop: Header=BB2_41 Depth=3
	s_wait_xcnt 0x0
	s_or_b32 exec_lo, exec_lo, s6
	v_lshlrev_b64_e32 v[8:9], 12, v[8:9]
	s_mov_b32 s41, s40
	s_mov_b32 s42, s40
	;; [unrolled: 1-line block ×3, first 2 shown]
	v_mov_b64_e32 v[16:17], s[40:41]
	v_mov_b64_e32 v[18:19], s[42:43]
	v_and_or_b32 v6, 0xffffff1d, v6, 34
	v_add_nc_u64_e32 v[12:13], v[12:13], v[8:9]
	v_dual_mov_b32 v8, v45 :: v_dual_mov_b32 v9, v45
	s_delay_alu instid0(VALU_DEP_2) | instskip(NEXT) | instid1(VALU_DEP_3)
	v_readfirstlane_b32 s6, v12
	v_readfirstlane_b32 s7, v13
	s_clause 0x3
	global_store_b128 v28, v[6:9], s[6:7]
	global_store_b128 v28, v[16:19], s[6:7] offset:16
	global_store_b128 v28, v[16:19], s[6:7] offset:32
	;; [unrolled: 1-line block ×3, first 2 shown]
	s_wait_xcnt 0x0
	s_and_saveexec_b32 s1, s0
	s_cbranch_execz .LBB2_164
; %bb.157:                              ;   in Loop: Header=BB2_41 Depth=3
	s_clause 0x1
	global_load_b64 v[18:19], v45, s[2:3] offset:32 scope:SCOPE_SYS
	global_load_b64 v[6:7], v45, s[2:3] offset:40
	s_mov_b32 s6, exec_lo
	v_dual_mov_b32 v16, s4 :: v_dual_mov_b32 v17, s5
	s_wait_loadcnt 0x0
	v_and_b32_e32 v7, s5, v7
	v_and_b32_e32 v6, s4, v6
	s_delay_alu instid0(VALU_DEP_1) | instskip(NEXT) | instid1(VALU_DEP_1)
	v_mul_u64_e32 v[6:7], 24, v[6:7]
	v_add_nc_u64_e32 v[10:11], v[10:11], v[6:7]
	global_store_b64 v[10:11], v[18:19], off
	global_wb scope:SCOPE_SYS
	s_wait_storecnt 0x0
	s_wait_xcnt 0x0
	global_atomic_cmpswap_b64 v[8:9], v45, v[16:19], s[2:3] offset:32 th:TH_ATOMIC_RETURN scope:SCOPE_SYS
	s_wait_loadcnt 0x0
	v_cmpx_ne_u64_e64 v[8:9], v[18:19]
	s_cbranch_execz .LBB2_160
; %bb.158:                              ;   in Loop: Header=BB2_41 Depth=3
	s_mov_b32 s7, 0
.LBB2_159:                              ;   Parent Loop BB2_13 Depth=1
                                        ;     Parent Loop BB2_27 Depth=2
                                        ;       Parent Loop BB2_41 Depth=3
                                        ; =>      This Inner Loop Header: Depth=4
	v_dual_mov_b32 v6, s4 :: v_dual_mov_b32 v7, s5
	s_sleep 1
	global_store_b64 v[10:11], v[8:9], off
	global_wb scope:SCOPE_SYS
	s_wait_storecnt 0x0
	s_wait_xcnt 0x0
	global_atomic_cmpswap_b64 v[6:7], v45, v[6:9], s[2:3] offset:32 th:TH_ATOMIC_RETURN scope:SCOPE_SYS
	s_wait_loadcnt 0x0
	v_cmp_eq_u64_e32 vcc_lo, v[6:7], v[8:9]
	v_mov_b64_e32 v[8:9], v[6:7]
	s_or_b32 s7, vcc_lo, s7
	s_delay_alu instid0(SALU_CYCLE_1)
	s_and_not1_b32 exec_lo, exec_lo, s7
	s_cbranch_execnz .LBB2_159
.LBB2_160:                              ;   in Loop: Header=BB2_41 Depth=3
	s_or_b32 exec_lo, exec_lo, s6
	global_load_b64 v[6:7], v45, s[2:3] offset:16
	s_mov_b32 s7, exec_lo
	s_mov_b32 s6, exec_lo
	v_mbcnt_lo_u32_b32 v3, s7, 0
	s_wait_xcnt 0x0
	s_delay_alu instid0(VALU_DEP_1)
	v_cmpx_eq_u32_e32 0, v3
	s_cbranch_execz .LBB2_162
; %bb.161:                              ;   in Loop: Header=BB2_41 Depth=3
	s_bcnt1_i32_b32 s7, s7
	s_delay_alu instid0(SALU_CYCLE_1)
	v_mov_b32_e32 v44, s7
	global_wb scope:SCOPE_SYS
	s_wait_loadcnt 0x0
	s_wait_storecnt 0x0
	global_atomic_add_u64 v[6:7], v[44:45], off offset:8 scope:SCOPE_SYS
.LBB2_162:                              ;   in Loop: Header=BB2_41 Depth=3
	s_wait_xcnt 0x0
	s_or_b32 exec_lo, exec_lo, s6
	s_wait_loadcnt 0x0
	global_load_b64 v[8:9], v[6:7], off offset:16
	s_wait_loadcnt 0x0
	v_cmp_eq_u64_e32 vcc_lo, 0, v[8:9]
	s_cbranch_vccnz .LBB2_164
; %bb.163:                              ;   in Loop: Header=BB2_41 Depth=3
	global_load_b32 v44, v[6:7], off offset:24
	s_wait_loadcnt 0x0
	v_readfirstlane_b32 s6, v44
	global_wb scope:SCOPE_SYS
	s_wait_storecnt 0x0
	s_wait_xcnt 0x0
	global_store_b64 v[8:9], v[44:45], off scope:SCOPE_SYS
	s_and_b32 m0, s6, 0xffffff
	s_sendmsg sendmsg(MSG_INTERRUPT)
.LBB2_164:                              ;   in Loop: Header=BB2_41 Depth=3
	s_wait_xcnt 0x0
	s_or_b32 exec_lo, exec_lo, s1
	s_branch .LBB2_168
.LBB2_165:                              ;   in Loop: Header=BB2_168 Depth=4
	s_wait_xcnt 0x0
	s_or_b32 exec_lo, exec_lo, s1
	s_delay_alu instid0(VALU_DEP_1)
	v_readfirstlane_b32 s1, v3
	s_cmp_eq_u32 s1, 0
	s_cbranch_scc1 .LBB2_167
; %bb.166:                              ;   in Loop: Header=BB2_168 Depth=4
	s_sleep 1
	s_cbranch_execnz .LBB2_168
	s_branch .LBB2_170
.LBB2_167:                              ;   in Loop: Header=BB2_41 Depth=3
	s_branch .LBB2_170
.LBB2_168:                              ;   Parent Loop BB2_13 Depth=1
                                        ;     Parent Loop BB2_27 Depth=2
                                        ;       Parent Loop BB2_41 Depth=3
                                        ; =>      This Inner Loop Header: Depth=4
	v_mov_b32_e32 v3, 1
	s_and_saveexec_b32 s1, s0
	s_cbranch_execz .LBB2_165
; %bb.169:                              ;   in Loop: Header=BB2_168 Depth=4
	global_load_b32 v3, v[14:15], off offset:20 scope:SCOPE_SYS
	s_wait_loadcnt 0x0
	global_inv scope:SCOPE_SYS
	v_and_b32_e32 v3, 1, v3
	s_branch .LBB2_165
.LBB2_170:                              ;   in Loop: Header=BB2_41 Depth=3
	s_and_b32 exec_lo, exec_lo, s0
	s_cbranch_execz .LBB2_174
; %bb.171:                              ;   in Loop: Header=BB2_41 Depth=3
	s_clause 0x2
	global_load_b64 v[6:7], v45, s[2:3] offset:40
	global_load_b64 v[14:15], v45, s[2:3] offset:24 scope:SCOPE_SYS
	global_load_b64 v[8:9], v45, s[2:3]
	s_wait_loadcnt 0x2
	v_readfirstlane_b32 s6, v6
	v_readfirstlane_b32 s7, v7
	s_add_nc_u64 s[0:1], s[6:7], 1
	s_delay_alu instid0(SALU_CYCLE_1) | instskip(NEXT) | instid1(SALU_CYCLE_1)
	s_add_nc_u64 s[4:5], s[0:1], s[4:5]
	s_cmp_eq_u64 s[4:5], 0
	s_cselect_b32 s1, s1, s5
	s_cselect_b32 s0, s0, s4
	s_delay_alu instid0(SALU_CYCLE_1) | instskip(SKIP_1) | instid1(SALU_CYCLE_1)
	v_dual_mov_b32 v13, s1 :: v_dual_mov_b32 v12, s0
	s_and_b64 s[4:5], s[0:1], s[6:7]
	s_mul_u64 s[4:5], s[4:5], 24
	s_wait_loadcnt 0x0
	v_add_nc_u64_e32 v[10:11], s[4:5], v[8:9]
	global_store_b64 v[10:11], v[14:15], off
	global_wb scope:SCOPE_SYS
	s_wait_storecnt 0x0
	s_wait_xcnt 0x0
	global_atomic_cmpswap_b64 v[8:9], v45, v[12:15], s[2:3] offset:24 th:TH_ATOMIC_RETURN scope:SCOPE_SYS
	s_wait_loadcnt 0x0
	v_cmp_ne_u64_e32 vcc_lo, v[8:9], v[14:15]
	s_and_b32 exec_lo, exec_lo, vcc_lo
	s_cbranch_execz .LBB2_174
; %bb.172:                              ;   in Loop: Header=BB2_41 Depth=3
	s_mov_b32 s4, 0
.LBB2_173:                              ;   Parent Loop BB2_13 Depth=1
                                        ;     Parent Loop BB2_27 Depth=2
                                        ;       Parent Loop BB2_41 Depth=3
                                        ; =>      This Inner Loop Header: Depth=4
	v_dual_mov_b32 v6, s0 :: v_dual_mov_b32 v7, s1
	s_sleep 1
	global_store_b64 v[10:11], v[8:9], off
	global_wb scope:SCOPE_SYS
	s_wait_storecnt 0x0
	s_wait_xcnt 0x0
	global_atomic_cmpswap_b64 v[6:7], v45, v[6:9], s[2:3] offset:24 th:TH_ATOMIC_RETURN scope:SCOPE_SYS
	s_wait_loadcnt 0x0
	v_cmp_eq_u64_e32 vcc_lo, v[6:7], v[8:9]
	v_mov_b64_e32 v[8:9], v[6:7]
	s_or_b32 s4, vcc_lo, s4
	s_delay_alu instid0(SALU_CYCLE_1)
	s_and_not1_b32 exec_lo, exec_lo, s4
	s_cbranch_execnz .LBB2_173
.LBB2_174:                              ;   in Loop: Header=BB2_41 Depth=3
	s_or_b32 exec_lo, exec_lo, s16
	v_mov_b32_e32 v3, v45
	s_mov_b32 s0, exec_lo
	s_wait_loadcnt 0x0
	s_delay_alu instid0(VALU_DEP_1)
	v_add_nc_u64_e32 v[6:7], v[90:91], v[2:3]
	global_load_u8 v5, v[6:7], off
	s_wait_loadcnt 0x0
	v_cmpx_ne_u16_e32 0x4e, v5
	s_cbranch_execz .LBB2_40
; %bb.175:                              ;   in Loop: Header=BB2_41 Depth=3
	v_add_nc_u64_e32 v[2:3], v[92:93], v[2:3]
	s_mov_b32 s1, exec_lo
	global_load_i8 v2, v[2:3], off
	s_wait_loadcnt 0x0
	v_subrev_nc_u32_e32 v6, s58, v2
	s_wait_xcnt 0x0
	s_delay_alu instid0(VALU_DEP_1)
	v_cmpx_lt_i32_e32 9, v6
	s_cbranch_execz .LBB2_180
; %bb.176:                              ;   in Loop: Header=BB2_41 Depth=3
	s_mov_b32 s2, 0
	s_mov_b32 s3, exec_lo
                                        ; implicit-def: $vgpr2_vgpr3
	v_cmpx_lt_i16_e32 0x46, v5
	s_xor_b32 s3, exec_lo, s3
	s_cbranch_execnz .LBB2_184
; %bb.177:                              ;   in Loop: Header=BB2_41 Depth=3
	s_and_not1_saveexec_b32 s3, s3
	s_cbranch_execnz .LBB2_193
.LBB2_178:                              ;   in Loop: Header=BB2_41 Depth=3
	s_or_b32 exec_lo, exec_lo, s3
	s_delay_alu instid0(SALU_CYCLE_1)
	s_and_b32 exec_lo, exec_lo, s2
	s_cbranch_execz .LBB2_180
.LBB2_179:                              ;   in Loop: Header=BB2_41 Depth=3
	flat_atomic_add_u32 v[2:3], v98 scope:SCOPE_DEV
.LBB2_180:                              ;   in Loop: Header=BB2_41 Depth=3
	s_wait_xcnt 0x0
	s_or_b32 exec_lo, exec_lo, s1
	v_cmp_lt_i32_e32 vcc_lo, 19, v6
	s_and_b32 exec_lo, exec_lo, vcc_lo
	s_cbranch_execz .LBB2_40
; %bb.181:                              ;   in Loop: Header=BB2_41 Depth=3
	s_mov_b32 s1, 0
	s_mov_b32 s2, exec_lo
                                        ; implicit-def: $vgpr2_vgpr3
	v_cmpx_lt_i16_e32 0x46, v5
	s_xor_b32 s2, exec_lo, s2
	s_cbranch_execnz .LBB2_200
; %bb.182:                              ;   in Loop: Header=BB2_41 Depth=3
	s_and_not1_saveexec_b32 s2, s2
	s_cbranch_execnz .LBB2_209
.LBB2_183:                              ;   in Loop: Header=BB2_41 Depth=3
	s_or_b32 exec_lo, exec_lo, s2
	s_delay_alu instid0(SALU_CYCLE_1)
	s_and_b32 exec_lo, exec_lo, s1
	s_cbranch_execz .LBB2_40
	s_branch .LBB2_216
.LBB2_184:                              ;   in Loop: Header=BB2_41 Depth=3
	s_mov_b32 s4, exec_lo
                                        ; implicit-def: $vgpr2_vgpr3
	v_cmpx_lt_i16_e32 0x53, v5
	s_xor_b32 s4, exec_lo, s4
	s_cbranch_execz .LBB2_188
; %bb.185:                              ;   in Loop: Header=BB2_41 Depth=3
	s_mov_b32 s5, exec_lo
                                        ; implicit-def: $vgpr2_vgpr3
	v_cmpx_eq_u16_e32 0x54, v5
; %bb.186:                              ;   in Loop: Header=BB2_41 Depth=3
	s_mov_b32 s2, exec_lo
	v_add_nc_u64_e32 v[2:3], 44, v[0:1]
; %bb.187:                              ;   in Loop: Header=BB2_41 Depth=3
	s_or_b32 exec_lo, exec_lo, s5
	s_delay_alu instid0(SALU_CYCLE_1)
	s_and_b32 s2, s2, exec_lo
.LBB2_188:                              ;   in Loop: Header=BB2_41 Depth=3
	s_and_not1_saveexec_b32 s4, s4
	s_cbranch_execz .LBB2_192
; %bb.189:                              ;   in Loop: Header=BB2_41 Depth=3
	s_mov_b32 s5, s2
	s_mov_b32 s6, exec_lo
                                        ; implicit-def: $vgpr2_vgpr3
	v_cmpx_eq_u16_e32 0x47, v5
; %bb.190:                              ;   in Loop: Header=BB2_41 Depth=3
	v_add_nc_u64_e32 v[2:3], 40, v[0:1]
	s_or_b32 s5, s2, exec_lo
; %bb.191:                              ;   in Loop: Header=BB2_41 Depth=3
	s_or_b32 exec_lo, exec_lo, s6
	s_delay_alu instid0(SALU_CYCLE_1) | instskip(SKIP_1) | instid1(SALU_CYCLE_1)
	s_and_not1_b32 s2, s2, exec_lo
	s_and_b32 s5, s5, exec_lo
	s_or_b32 s2, s2, s5
.LBB2_192:                              ;   in Loop: Header=BB2_41 Depth=3
	s_or_b32 exec_lo, exec_lo, s4
	s_delay_alu instid0(SALU_CYCLE_1)
	s_and_b32 s2, s2, exec_lo
	s_and_not1_saveexec_b32 s3, s3
	s_cbranch_execz .LBB2_178
.LBB2_193:                              ;   in Loop: Header=BB2_41 Depth=3
	s_mov_b32 s4, s2
	s_mov_b32 s5, exec_lo
                                        ; implicit-def: $vgpr2_vgpr3
	v_cmpx_lt_i16_e32 0x42, v5
	s_xor_b32 s5, exec_lo, s5
	s_cbranch_execz .LBB2_197
; %bb.194:                              ;   in Loop: Header=BB2_41 Depth=3
	s_mov_b32 s4, s2
	s_mov_b32 s6, exec_lo
                                        ; implicit-def: $vgpr2_vgpr3
	v_cmpx_eq_u16_e32 0x43, v5
; %bb.195:                              ;   in Loop: Header=BB2_41 Depth=3
	v_add_nc_u64_e32 v[2:3], 36, v[0:1]
	s_or_b32 s4, s2, exec_lo
; %bb.196:                              ;   in Loop: Header=BB2_41 Depth=3
	s_or_b32 exec_lo, exec_lo, s6
	s_delay_alu instid0(SALU_CYCLE_1) | instskip(SKIP_1) | instid1(SALU_CYCLE_1)
	s_and_not1_b32 s6, s2, exec_lo
	s_and_b32 s4, s4, exec_lo
	s_or_b32 s4, s6, s4
.LBB2_197:                              ;   in Loop: Header=BB2_41 Depth=3
	s_and_not1_saveexec_b32 s5, s5
; %bb.198:                              ;   in Loop: Header=BB2_41 Depth=3
	v_cmp_eq_u16_e32 vcc_lo, 0x41, v5
	v_add_nc_u64_e32 v[2:3], 32, v[0:1]
	s_and_not1_b32 s4, s4, exec_lo
	s_and_b32 s6, vcc_lo, exec_lo
	s_delay_alu instid0(SALU_CYCLE_1)
	s_or_b32 s4, s4, s6
; %bb.199:                              ;   in Loop: Header=BB2_41 Depth=3
	s_or_b32 exec_lo, exec_lo, s5
	s_delay_alu instid0(SALU_CYCLE_1) | instskip(SKIP_1) | instid1(SALU_CYCLE_1)
	s_and_not1_b32 s2, s2, exec_lo
	s_and_b32 s4, s4, exec_lo
	s_or_b32 s2, s2, s4
	s_or_b32 exec_lo, exec_lo, s3
	s_delay_alu instid0(SALU_CYCLE_1)
	s_and_b32 exec_lo, exec_lo, s2
	s_cbranch_execnz .LBB2_179
	s_branch .LBB2_180
.LBB2_200:                              ;   in Loop: Header=BB2_41 Depth=3
	s_mov_b32 s3, exec_lo
                                        ; implicit-def: $vgpr2_vgpr3
	v_cmpx_lt_i16_e32 0x53, v5
	s_xor_b32 s3, exec_lo, s3
	s_cbranch_execz .LBB2_204
; %bb.201:                              ;   in Loop: Header=BB2_41 Depth=3
	s_mov_b32 s4, exec_lo
                                        ; implicit-def: $vgpr2_vgpr3
	v_cmpx_eq_u16_e32 0x54, v5
; %bb.202:                              ;   in Loop: Header=BB2_41 Depth=3
	s_mov_b32 s1, exec_lo
	v_add_nc_u64_e32 v[2:3], 28, v[0:1]
; %bb.203:                              ;   in Loop: Header=BB2_41 Depth=3
	s_or_b32 exec_lo, exec_lo, s4
	s_delay_alu instid0(SALU_CYCLE_1)
	s_and_b32 s1, s1, exec_lo
                                        ; implicit-def: $vgpr5
                                        ; implicit-def: $vgpr0_vgpr1
.LBB2_204:                              ;   in Loop: Header=BB2_41 Depth=3
	s_and_not1_saveexec_b32 s3, s3
	s_cbranch_execz .LBB2_208
; %bb.205:                              ;   in Loop: Header=BB2_41 Depth=3
	s_mov_b32 s4, s1
	s_mov_b32 s5, exec_lo
                                        ; implicit-def: $vgpr2_vgpr3
	v_cmpx_eq_u16_e32 0x47, v5
; %bb.206:                              ;   in Loop: Header=BB2_41 Depth=3
	v_add_nc_u64_e32 v[2:3], 24, v[0:1]
	s_or_b32 s4, s1, exec_lo
; %bb.207:                              ;   in Loop: Header=BB2_41 Depth=3
	s_or_b32 exec_lo, exec_lo, s5
	s_delay_alu instid0(SALU_CYCLE_1) | instskip(SKIP_1) | instid1(SALU_CYCLE_1)
	s_and_not1_b32 s1, s1, exec_lo
	s_and_b32 s4, s4, exec_lo
	s_or_b32 s1, s1, s4
.LBB2_208:                              ;   in Loop: Header=BB2_41 Depth=3
	s_or_b32 exec_lo, exec_lo, s3
	s_delay_alu instid0(SALU_CYCLE_1)
	s_and_b32 s1, s1, exec_lo
                                        ; implicit-def: $vgpr0_vgpr1
                                        ; implicit-def: $vgpr5
	s_and_not1_saveexec_b32 s2, s2
	s_cbranch_execz .LBB2_183
.LBB2_209:                              ;   in Loop: Header=BB2_41 Depth=3
	s_mov_b32 s3, s1
	s_mov_b32 s4, exec_lo
                                        ; implicit-def: $vgpr2_vgpr3
	v_cmpx_lt_i16_e32 0x42, v5
	s_xor_b32 s4, exec_lo, s4
	s_cbranch_execz .LBB2_213
; %bb.210:                              ;   in Loop: Header=BB2_41 Depth=3
	s_mov_b32 s3, s1
	s_mov_b32 s5, exec_lo
                                        ; implicit-def: $vgpr2_vgpr3
	v_cmpx_eq_u16_e32 0x43, v5
; %bb.211:                              ;   in Loop: Header=BB2_41 Depth=3
	v_add_nc_u64_e32 v[2:3], 20, v[0:1]
	s_or_b32 s3, s1, exec_lo
; %bb.212:                              ;   in Loop: Header=BB2_41 Depth=3
	s_or_b32 exec_lo, exec_lo, s5
	s_delay_alu instid0(SALU_CYCLE_1) | instskip(SKIP_1) | instid1(SALU_CYCLE_1)
	s_and_not1_b32 s5, s1, exec_lo
	s_and_b32 s3, s3, exec_lo
                                        ; implicit-def: $vgpr0_vgpr1
                                        ; implicit-def: $vgpr5
	s_or_b32 s3, s5, s3
.LBB2_213:                              ;   in Loop: Header=BB2_41 Depth=3
	s_and_not1_saveexec_b32 s4, s4
; %bb.214:                              ;   in Loop: Header=BB2_41 Depth=3
	v_cmp_eq_u16_e32 vcc_lo, 0x41, v5
	v_add_nc_u64_e32 v[2:3], 16, v[0:1]
	s_and_not1_b32 s3, s3, exec_lo
	s_and_b32 s5, vcc_lo, exec_lo
	s_delay_alu instid0(SALU_CYCLE_1)
	s_or_b32 s3, s3, s5
; %bb.215:                              ;   in Loop: Header=BB2_41 Depth=3
	s_or_b32 exec_lo, exec_lo, s4
	s_delay_alu instid0(SALU_CYCLE_1) | instskip(SKIP_1) | instid1(SALU_CYCLE_1)
	s_and_not1_b32 s1, s1, exec_lo
	s_and_b32 s3, s3, exec_lo
	s_or_b32 s1, s1, s3
	s_or_b32 exec_lo, exec_lo, s2
	s_delay_alu instid0(SALU_CYCLE_1)
	s_and_b32 exec_lo, exec_lo, s1
	s_cbranch_execz .LBB2_40
.LBB2_216:                              ;   in Loop: Header=BB2_41 Depth=3
	flat_atomic_add_u32 v[2:3], v98 scope:SCOPE_DEV
	s_branch .LBB2_40
.LBB2_217:                              ;   in Loop: Header=BB2_13 Depth=1
	s_or_b32 exec_lo, exec_lo, s66
; %bb.218:                              ;   in Loop: Header=BB2_13 Depth=1
	s_and_saveexec_b32 s16, s28
	s_cbranch_execz .LBB2_565
; %bb.219:                              ;   in Loop: Header=BB2_13 Depth=1
	v_mov_b32_e32 v5, v72
	s_mov_b32 s17, 0
	s_branch .LBB2_221
.LBB2_220:                              ;   in Loop: Header=BB2_221 Depth=2
	s_wait_xcnt 0x0
	s_or_b32 exec_lo, exec_lo, s18
	v_add_nc_u32_e32 v5, 64, v5
	s_delay_alu instid0(VALU_DEP_1) | instskip(SKIP_1) | instid1(SALU_CYCLE_1)
	v_cmp_ge_u32_e32 vcc_lo, v5, v42
	s_or_b32 s17, vcc_lo, s17
	s_and_not1_b32 exec_lo, exec_lo, s17
	s_cbranch_execz .LBB2_565
.LBB2_221:                              ;   Parent Loop BB2_13 Depth=1
                                        ; =>  This Loop Header: Depth=2
                                        ;       Child Loop BB2_330 Depth 3
                                        ;       Child Loop BB2_338 Depth 3
	;; [unrolled: 1-line block ×9, first 2 shown]
                                        ;         Child Loop BB2_431 Depth 4
                                        ;         Child Loop BB2_438 Depth 4
	;; [unrolled: 1-line block ×11, first 2 shown]
	s_delay_alu instid0(VALU_DEP_1)
	v_mad_nc_u64_u32 v[26:27], v5, 56, v[40:41]
	s_mov_b32 s18, exec_lo
	global_load_b32 v0, v[26:27], off offset:8
	s_wait_loadcnt 0x0
	s_wait_xcnt 0x0
	v_cmpx_ne_u32_e32 -1, v0
	s_cbranch_execz .LBB2_220
; %bb.222:                              ;   in Loop: Header=BB2_221 Depth=2
	s_clause 0x1
	global_load_b128 v[0:3], v[26:27], off offset:32
	global_load_b128 v[6:9], v[26:27], off offset:16
	s_mov_b32 s2, exec_lo
	s_wait_loadcnt 0x1
	v_dual_mov_b32 v17, v3 :: v_dual_mov_b32 v11, v2
	s_wait_loadcnt 0x0
	v_dual_mov_b32 v18, v1 :: v_dual_mov_b32 v12, v6
	v_dual_mov_b32 v16, v0 :: v_dual_mov_b32 v13, v0
	;; [unrolled: 1-line block ×4, first 2 shown]
	v_mov_b32_e32 v21, v3
	s_clause 0x7
	scratch_store_b8 off, v101, off
	scratch_store_b64 off, v[12:13], off offset:4
	scratch_store_b8 off, v102, off offset:16
	scratch_store_b64 off, v[14:15], off offset:20
	scratch_store_b8 off, v103, off offset:32
	;; [unrolled: 2-line block ×3, first 2 shown]
	scratch_store_b64 off, v[20:21], off offset:52
	s_wait_xcnt 0x0
	v_cmpx_lt_u32_e32 1, v0
	s_cbranch_execz .LBB2_236
; %bb.223:                              ;   in Loop: Header=BB2_221 Depth=2
	v_cvt_f64_u32_e32 v[14:15], v0
	v_mov_b32_e32 v16, 2
	s_mov_b32 s3, exec_lo
	s_delay_alu instid0(VALU_DEP_2)
	v_cmpx_ngt_f64_e32 v[76:77], v[14:15]
	s_cbranch_execz .LBB2_235
; %bb.224:                              ;   in Loop: Header=BB2_221 Depth=2
	v_cvt_f64_u32_e32 v[12:13], v6
	v_cmp_ngt_f64_e32 vcc_lo, v[78:79], v[14:15]
	v_cmp_nle_f64_e64 s0, v[76:77], v[14:15]
	v_mov_b32_e32 v16, 3
	s_delay_alu instid0(VALU_DEP_4) | instskip(SKIP_1) | instid1(SALU_CYCLE_1)
	v_cmp_ngt_f64_e64 s1, v[76:77], v[12:13]
	s_or_b32 s0, vcc_lo, s0
	s_or_b32 s4, s0, s1
	s_delay_alu instid0(SALU_CYCLE_1)
	s_and_saveexec_b32 s1, s4
	s_cbranch_execz .LBB2_234
; %bb.225:                              ;   in Loop: Header=BB2_221 Depth=2
	v_cmp_nle_f64_e32 vcc_lo, v[76:77], v[12:13]
	v_mov_b32_e32 v16, 4
	s_or_b32 s0, s0, vcc_lo
	s_delay_alu instid0(SALU_CYCLE_1)
	s_and_saveexec_b32 s4, s0
	s_cbranch_execz .LBB2_233
; %bb.226:                              ;   in Loop: Header=BB2_221 Depth=2
	v_cmp_nle_f64_e64 s6, v[78:79], v[14:15]
	v_cmp_ngt_f64_e64 s0, v[76:77], v[12:13]
	v_mov_b32_e32 v16, 5
	v_cmp_le_f64_e32 vcc_lo, v[78:79], v[14:15]
	s_or_b32 s0, s6, s0
	s_delay_alu instid0(SALU_CYCLE_1)
	s_and_saveexec_b32 s5, s0
	s_cbranch_execz .LBB2_232
; %bb.227:                              ;   in Loop: Header=BB2_221 Depth=2
	s_and_saveexec_b32 s7, vcc_lo
	s_cbranch_execz .LBB2_229
; %bb.228:                              ;   in Loop: Header=BB2_221 Depth=2
	v_cmp_nlt_f64_e32 vcc_lo, v[76:77], v[12:13]
	v_cmp_ngt_f64_e64 s0, v[78:79], v[12:13]
	s_and_not1_b32 s6, s6, exec_lo
	s_or_b32 s0, vcc_lo, s0
	s_delay_alu instid0(SALU_CYCLE_1) | instskip(NEXT) | instid1(SALU_CYCLE_1)
	s_and_b32 s0, s0, exec_lo
	s_or_b32 s6, s6, s0
.LBB2_229:                              ;   in Loop: Header=BB2_221 Depth=2
	s_or_b32 exec_lo, exec_lo, s7
	v_mov_b32_e32 v16, 6
	s_and_saveexec_b32 s0, s6
; %bb.230:                              ;   in Loop: Header=BB2_221 Depth=2
	v_mov_b32_e32 v16, 7
; %bb.231:                              ;   in Loop: Header=BB2_221 Depth=2
	s_or_b32 exec_lo, exec_lo, s0
.LBB2_232:                              ;   in Loop: Header=BB2_221 Depth=2
	s_delay_alu instid0(SALU_CYCLE_1)
	s_or_b32 exec_lo, exec_lo, s5
.LBB2_233:                              ;   in Loop: Header=BB2_221 Depth=2
	s_delay_alu instid0(SALU_CYCLE_1)
	s_or_b32 exec_lo, exec_lo, s4
.LBB2_234:                              ;   in Loop: Header=BB2_221 Depth=2
	s_delay_alu instid0(SALU_CYCLE_1)
	s_or_b32 exec_lo, exec_lo, s1
.LBB2_235:                              ;   in Loop: Header=BB2_221 Depth=2
	s_delay_alu instid0(SALU_CYCLE_1)
	s_or_b32 exec_lo, exec_lo, s3
.LBB2_236:                              ;   in Loop: Header=BB2_221 Depth=2
	s_delay_alu instid0(SALU_CYCLE_1) | instskip(NEXT) | instid1(SALU_CYCLE_1)
	s_or_b32 exec_lo, exec_lo, s2
	s_mov_b32 s2, exec_lo
	scratch_store_b32 off, v16, off offset:12
	s_wait_xcnt 0x0
	v_cmpx_lt_u32_e32 1, v1
	s_cbranch_execz .LBB2_250
; %bb.237:                              ;   in Loop: Header=BB2_221 Depth=2
	v_cvt_f64_u32_e32 v[14:15], v1
	v_mov_b32_e32 v18, 2
	s_mov_b32 s3, exec_lo
	s_delay_alu instid0(VALU_DEP_2)
	v_cmpx_ngt_f64_e32 v[76:77], v[14:15]
	s_cbranch_execz .LBB2_249
; %bb.238:                              ;   in Loop: Header=BB2_221 Depth=2
	v_cvt_f64_u32_e32 v[12:13], v7
	v_cmp_ngt_f64_e32 vcc_lo, v[78:79], v[14:15]
	v_cmp_nle_f64_e64 s0, v[76:77], v[14:15]
	v_mov_b32_e32 v18, 3
	s_delay_alu instid0(VALU_DEP_4) | instskip(SKIP_1) | instid1(SALU_CYCLE_1)
	v_cmp_ngt_f64_e64 s1, v[76:77], v[12:13]
	s_or_b32 s0, vcc_lo, s0
	s_or_b32 s4, s0, s1
	s_delay_alu instid0(SALU_CYCLE_1)
	s_and_saveexec_b32 s1, s4
	s_cbranch_execz .LBB2_248
; %bb.239:                              ;   in Loop: Header=BB2_221 Depth=2
	v_cmp_nle_f64_e32 vcc_lo, v[76:77], v[12:13]
	v_mov_b32_e32 v18, 4
	s_or_b32 s0, s0, vcc_lo
	s_delay_alu instid0(SALU_CYCLE_1)
	s_and_saveexec_b32 s4, s0
	s_cbranch_execz .LBB2_247
; %bb.240:                              ;   in Loop: Header=BB2_221 Depth=2
	v_cmp_nle_f64_e64 s6, v[78:79], v[14:15]
	v_cmp_ngt_f64_e64 s0, v[76:77], v[12:13]
	v_mov_b32_e32 v18, 5
	v_cmp_le_f64_e32 vcc_lo, v[78:79], v[14:15]
	s_or_b32 s0, s6, s0
	s_delay_alu instid0(SALU_CYCLE_1)
	s_and_saveexec_b32 s5, s0
	s_cbranch_execz .LBB2_246
; %bb.241:                              ;   in Loop: Header=BB2_221 Depth=2
	s_and_saveexec_b32 s7, vcc_lo
	s_cbranch_execz .LBB2_243
; %bb.242:                              ;   in Loop: Header=BB2_221 Depth=2
	v_cmp_nlt_f64_e32 vcc_lo, v[76:77], v[12:13]
	v_cmp_ngt_f64_e64 s0, v[78:79], v[12:13]
	s_and_not1_b32 s6, s6, exec_lo
	s_or_b32 s0, vcc_lo, s0
	s_delay_alu instid0(SALU_CYCLE_1) | instskip(NEXT) | instid1(SALU_CYCLE_1)
	s_and_b32 s0, s0, exec_lo
	s_or_b32 s6, s6, s0
.LBB2_243:                              ;   in Loop: Header=BB2_221 Depth=2
	s_or_b32 exec_lo, exec_lo, s7
	v_mov_b32_e32 v18, 6
	s_and_saveexec_b32 s0, s6
; %bb.244:                              ;   in Loop: Header=BB2_221 Depth=2
	v_mov_b32_e32 v18, 7
; %bb.245:                              ;   in Loop: Header=BB2_221 Depth=2
	s_or_b32 exec_lo, exec_lo, s0
.LBB2_246:                              ;   in Loop: Header=BB2_221 Depth=2
	s_delay_alu instid0(SALU_CYCLE_1)
	s_or_b32 exec_lo, exec_lo, s5
.LBB2_247:                              ;   in Loop: Header=BB2_221 Depth=2
	s_delay_alu instid0(SALU_CYCLE_1)
	s_or_b32 exec_lo, exec_lo, s4
.LBB2_248:                              ;   in Loop: Header=BB2_221 Depth=2
	s_delay_alu instid0(SALU_CYCLE_1)
	s_or_b32 exec_lo, exec_lo, s1
.LBB2_249:                              ;   in Loop: Header=BB2_221 Depth=2
	s_delay_alu instid0(SALU_CYCLE_1)
	s_or_b32 exec_lo, exec_lo, s3
.LBB2_250:                              ;   in Loop: Header=BB2_221 Depth=2
	s_delay_alu instid0(SALU_CYCLE_1) | instskip(NEXT) | instid1(SALU_CYCLE_1)
	s_or_b32 exec_lo, exec_lo, s2
	s_mov_b32 s2, exec_lo
	scratch_store_b32 off, v18, off offset:28
	s_wait_xcnt 0x0
	v_cmpx_lt_u32_e32 1, v2
	s_cbranch_execz .LBB2_264
; %bb.251:                              ;   in Loop: Header=BB2_221 Depth=2
	v_cvt_f64_u32_e32 v[14:15], v2
	v_mov_b32_e32 v11, 2
	s_mov_b32 s3, exec_lo
	s_delay_alu instid0(VALU_DEP_2)
	v_cmpx_ngt_f64_e32 v[76:77], v[14:15]
	s_cbranch_execz .LBB2_263
; %bb.252:                              ;   in Loop: Header=BB2_221 Depth=2
	v_cvt_f64_u32_e32 v[12:13], v8
	v_cmp_ngt_f64_e32 vcc_lo, v[78:79], v[14:15]
	v_cmp_nle_f64_e64 s0, v[76:77], v[14:15]
	v_mov_b32_e32 v11, 3
	s_delay_alu instid0(VALU_DEP_4) | instskip(SKIP_1) | instid1(SALU_CYCLE_1)
	v_cmp_ngt_f64_e64 s1, v[76:77], v[12:13]
	s_or_b32 s0, vcc_lo, s0
	s_or_b32 s4, s0, s1
	s_delay_alu instid0(SALU_CYCLE_1)
	s_and_saveexec_b32 s1, s4
	s_cbranch_execz .LBB2_262
; %bb.253:                              ;   in Loop: Header=BB2_221 Depth=2
	v_cmp_nle_f64_e32 vcc_lo, v[76:77], v[12:13]
	v_mov_b32_e32 v11, 4
	s_or_b32 s0, s0, vcc_lo
	s_delay_alu instid0(SALU_CYCLE_1)
	s_and_saveexec_b32 s4, s0
	s_cbranch_execz .LBB2_261
; %bb.254:                              ;   in Loop: Header=BB2_221 Depth=2
	v_cmp_nle_f64_e64 s6, v[78:79], v[14:15]
	v_cmp_ngt_f64_e64 s0, v[76:77], v[12:13]
	v_mov_b32_e32 v11, 5
	v_cmp_le_f64_e32 vcc_lo, v[78:79], v[14:15]
	s_or_b32 s0, s6, s0
	s_delay_alu instid0(SALU_CYCLE_1)
	s_and_saveexec_b32 s5, s0
	s_cbranch_execz .LBB2_260
; %bb.255:                              ;   in Loop: Header=BB2_221 Depth=2
	s_and_saveexec_b32 s7, vcc_lo
	s_cbranch_execz .LBB2_257
; %bb.256:                              ;   in Loop: Header=BB2_221 Depth=2
	v_cmp_nlt_f64_e32 vcc_lo, v[76:77], v[12:13]
	v_cmp_ngt_f64_e64 s0, v[78:79], v[12:13]
	s_and_not1_b32 s6, s6, exec_lo
	s_or_b32 s0, vcc_lo, s0
	s_delay_alu instid0(SALU_CYCLE_1) | instskip(NEXT) | instid1(SALU_CYCLE_1)
	s_and_b32 s0, s0, exec_lo
	s_or_b32 s6, s6, s0
.LBB2_257:                              ;   in Loop: Header=BB2_221 Depth=2
	s_or_b32 exec_lo, exec_lo, s7
	v_mov_b32_e32 v11, 6
	s_and_saveexec_b32 s0, s6
; %bb.258:                              ;   in Loop: Header=BB2_221 Depth=2
	v_mov_b32_e32 v11, 7
; %bb.259:                              ;   in Loop: Header=BB2_221 Depth=2
	s_or_b32 exec_lo, exec_lo, s0
.LBB2_260:                              ;   in Loop: Header=BB2_221 Depth=2
	s_delay_alu instid0(SALU_CYCLE_1)
	s_or_b32 exec_lo, exec_lo, s5
.LBB2_261:                              ;   in Loop: Header=BB2_221 Depth=2
	s_delay_alu instid0(SALU_CYCLE_1)
	s_or_b32 exec_lo, exec_lo, s4
.LBB2_262:                              ;   in Loop: Header=BB2_221 Depth=2
	s_delay_alu instid0(SALU_CYCLE_1)
	s_or_b32 exec_lo, exec_lo, s1
.LBB2_263:                              ;   in Loop: Header=BB2_221 Depth=2
	s_delay_alu instid0(SALU_CYCLE_1)
	s_or_b32 exec_lo, exec_lo, s3
.LBB2_264:                              ;   in Loop: Header=BB2_221 Depth=2
	s_delay_alu instid0(SALU_CYCLE_1) | instskip(NEXT) | instid1(SALU_CYCLE_1)
	s_or_b32 exec_lo, exec_lo, s2
	s_mov_b32 s2, exec_lo
	scratch_store_b32 off, v11, off offset:44
	s_wait_xcnt 0x0
	v_cmpx_lt_u32_e32 1, v3
	s_cbranch_execz .LBB2_278
; %bb.265:                              ;   in Loop: Header=BB2_221 Depth=2
	v_cvt_f64_u32_e32 v[14:15], v3
	v_mov_b32_e32 v17, 2
	s_mov_b32 s3, exec_lo
	s_delay_alu instid0(VALU_DEP_2)
	v_cmpx_ngt_f64_e32 v[76:77], v[14:15]
	s_cbranch_execz .LBB2_277
; %bb.266:                              ;   in Loop: Header=BB2_221 Depth=2
	v_cvt_f64_u32_e32 v[12:13], v9
	v_cmp_ngt_f64_e32 vcc_lo, v[78:79], v[14:15]
	v_cmp_nle_f64_e64 s0, v[76:77], v[14:15]
	v_mov_b32_e32 v17, 3
	s_delay_alu instid0(VALU_DEP_4) | instskip(SKIP_1) | instid1(SALU_CYCLE_1)
	v_cmp_ngt_f64_e64 s1, v[76:77], v[12:13]
	s_or_b32 s0, vcc_lo, s0
	s_or_b32 s4, s0, s1
	s_delay_alu instid0(SALU_CYCLE_1)
	s_and_saveexec_b32 s1, s4
	s_cbranch_execz .LBB2_276
; %bb.267:                              ;   in Loop: Header=BB2_221 Depth=2
	v_cmp_nle_f64_e32 vcc_lo, v[76:77], v[12:13]
	v_mov_b32_e32 v17, 4
	s_or_b32 s0, s0, vcc_lo
	s_delay_alu instid0(SALU_CYCLE_1)
	s_and_saveexec_b32 s4, s0
	s_cbranch_execz .LBB2_275
; %bb.268:                              ;   in Loop: Header=BB2_221 Depth=2
	v_cmp_nle_f64_e64 s6, v[78:79], v[14:15]
	v_cmp_ngt_f64_e64 s0, v[76:77], v[12:13]
	v_mov_b32_e32 v17, 5
	v_cmp_le_f64_e32 vcc_lo, v[78:79], v[14:15]
	s_or_b32 s0, s6, s0
	s_delay_alu instid0(SALU_CYCLE_1)
	s_and_saveexec_b32 s5, s0
	s_cbranch_execz .LBB2_274
; %bb.269:                              ;   in Loop: Header=BB2_221 Depth=2
	s_and_saveexec_b32 s7, vcc_lo
	s_cbranch_execz .LBB2_271
; %bb.270:                              ;   in Loop: Header=BB2_221 Depth=2
	v_cmp_nlt_f64_e32 vcc_lo, v[76:77], v[12:13]
	v_cmp_ngt_f64_e64 s0, v[78:79], v[12:13]
	s_and_not1_b32 s6, s6, exec_lo
	s_or_b32 s0, vcc_lo, s0
	s_delay_alu instid0(SALU_CYCLE_1) | instskip(NEXT) | instid1(SALU_CYCLE_1)
	s_and_b32 s0, s0, exec_lo
	s_or_b32 s6, s6, s0
.LBB2_271:                              ;   in Loop: Header=BB2_221 Depth=2
	s_or_b32 exec_lo, exec_lo, s7
	v_mov_b32_e32 v17, 6
	s_and_saveexec_b32 s0, s6
; %bb.272:                              ;   in Loop: Header=BB2_221 Depth=2
	v_mov_b32_e32 v17, 7
; %bb.273:                              ;   in Loop: Header=BB2_221 Depth=2
	s_or_b32 exec_lo, exec_lo, s0
.LBB2_274:                              ;   in Loop: Header=BB2_221 Depth=2
	s_delay_alu instid0(SALU_CYCLE_1)
	s_or_b32 exec_lo, exec_lo, s5
.LBB2_275:                              ;   in Loop: Header=BB2_221 Depth=2
	s_delay_alu instid0(SALU_CYCLE_1)
	s_or_b32 exec_lo, exec_lo, s4
.LBB2_276:                              ;   in Loop: Header=BB2_221 Depth=2
	s_delay_alu instid0(SALU_CYCLE_1)
	s_or_b32 exec_lo, exec_lo, s1
.LBB2_277:                              ;   in Loop: Header=BB2_221 Depth=2
	s_delay_alu instid0(SALU_CYCLE_1)
	s_or_b32 exec_lo, exec_lo, s3
.LBB2_278:                              ;   in Loop: Header=BB2_221 Depth=2
	s_delay_alu instid0(SALU_CYCLE_1) | instskip(NEXT) | instid1(SALU_CYCLE_1)
	s_or_b32 exec_lo, exec_lo, s2
	s_mov_b32 s1, exec_lo
	scratch_store_b32 off, v17, off offset:60
                                        ; implicit-def: $sgpr0
	s_wait_xcnt 0x0
	v_cmpx_ne_u32_e64 v16, v18
	s_xor_b32 s1, exec_lo, s1
	s_cbranch_execnz .LBB2_349
; %bb.279:                              ;   in Loop: Header=BB2_221 Depth=2
	s_and_not1_saveexec_b32 s1, s1
	s_cbranch_execnz .LBB2_350
.LBB2_280:                              ;   in Loop: Header=BB2_221 Depth=2
	s_or_b32 exec_lo, exec_lo, s1
	s_and_saveexec_b32 s1, s0
	s_cbranch_execz .LBB2_282
.LBB2_281:                              ;   in Loop: Header=BB2_221 Depth=2
	scratch_load_b128 v[12:15], off, s60
	scratch_load_b128 v[18:21], off, off
	s_wait_loadcnt 0x1
	s_clause 0x1
	scratch_store_b128 off, v[12:15], off
	scratch_load_b32 v16, off, off offset:12
	s_wait_loadcnt 0x1
	ds_store_2addr_b32 v97, v20, v21 offset0:2 offset1:3
	ds_store_2addr_b32 v97, v18, v19 offset1:1
	scratch_store_b128 off, v[18:21], s60
.LBB2_282:                              ;   in Loop: Header=BB2_221 Depth=2
	s_wait_xcnt 0x0
	s_or_b32 exec_lo, exec_lo, s1
	s_delay_alu instid0(SALU_CYCLE_1)
	s_mov_b32 s1, exec_lo
                                        ; implicit-def: $sgpr0
	s_wait_loadcnt 0x0
	v_cmpx_ne_u32_e64 v16, v11
	s_xor_b32 s1, exec_lo, s1
	s_cbranch_execnz .LBB2_355
; %bb.283:                              ;   in Loop: Header=BB2_221 Depth=2
	s_and_not1_saveexec_b32 s1, s1
	s_cbranch_execnz .LBB2_356
.LBB2_284:                              ;   in Loop: Header=BB2_221 Depth=2
	s_or_b32 exec_lo, exec_lo, s1
	s_and_saveexec_b32 s1, s0
	s_cbranch_execz .LBB2_286
.LBB2_285:                              ;   in Loop: Header=BB2_221 Depth=2
	scratch_load_b128 v[10:13], off, s61
	scratch_load_b128 v[18:21], off, off
	s_wait_loadcnt 0x1
	s_clause 0x1
	scratch_store_b128 off, v[10:13], off
	scratch_load_b32 v16, off, off offset:12
	s_wait_loadcnt 0x1
	ds_store_2addr_b32 v97, v20, v21 offset0:2 offset1:3
	ds_store_2addr_b32 v97, v18, v19 offset1:1
	scratch_store_b128 off, v[18:21], s61
.LBB2_286:                              ;   in Loop: Header=BB2_221 Depth=2
	s_wait_xcnt 0x0
	s_or_b32 exec_lo, exec_lo, s1
	s_delay_alu instid0(SALU_CYCLE_1)
	s_mov_b32 s1, exec_lo
                                        ; implicit-def: $sgpr0
	s_wait_loadcnt 0x0
	v_cmpx_ne_u32_e64 v16, v17
	s_xor_b32 s1, exec_lo, s1
	s_cbranch_execnz .LBB2_361
; %bb.287:                              ;   in Loop: Header=BB2_221 Depth=2
	s_and_not1_saveexec_b32 s1, s1
	s_cbranch_execnz .LBB2_362
.LBB2_288:                              ;   in Loop: Header=BB2_221 Depth=2
	s_or_b32 exec_lo, exec_lo, s1
	s_and_saveexec_b32 s1, s0
	s_cbranch_execz .LBB2_290
.LBB2_289:                              ;   in Loop: Header=BB2_221 Depth=2
	scratch_load_b128 v[0:3], off, s62
	scratch_load_b128 v[6:9], off, off
	s_wait_loadcnt 0x1
	s_clause 0x1
	scratch_store_b128 off, v[0:3], off
	scratch_load_b32 v16, off, off offset:12
	s_wait_loadcnt 0x1
	ds_store_2addr_b32 v97, v8, v9 offset0:2 offset1:3
	ds_store_2addr_b32 v97, v6, v7 offset1:1
	scratch_store_b128 off, v[6:9], s62
.LBB2_290:                              ;   in Loop: Header=BB2_221 Depth=2
	s_wait_xcnt 0x0
	s_or_b32 exec_lo, exec_lo, s1
	scratch_load_b32 v0, off, off offset:28
	s_mov_b32 s1, exec_lo
                                        ; implicit-def: $sgpr0
	s_wait_loadcnt 0x0
	v_cmpx_ne_u32_e64 v0, v16
	s_xor_b32 s1, exec_lo, s1
	s_cbranch_execnz .LBB2_367
; %bb.291:                              ;   in Loop: Header=BB2_221 Depth=2
	s_and_not1_saveexec_b32 s1, s1
	s_cbranch_execnz .LBB2_368
.LBB2_292:                              ;   in Loop: Header=BB2_221 Depth=2
	s_or_b32 exec_lo, exec_lo, s1
	s_and_saveexec_b32 s1, s0
	s_cbranch_execz .LBB2_294
.LBB2_293:                              ;   in Loop: Header=BB2_221 Depth=2
	scratch_load_b128 v[0:3], off, off
	scratch_load_b128 v[6:9], off, s60
	s_wait_loadcnt 0x1
	scratch_store_b128 off, v[0:3], s60
	scratch_load_b32 v0, off, off offset:28
	s_wait_loadcnt 0x1
	ds_store_2addr_b32 v97, v8, v9 offset0:2 offset1:3
	ds_store_2addr_b32 v97, v6, v7 offset1:1
	scratch_store_b128 off, v[6:9], off
.LBB2_294:                              ;   in Loop: Header=BB2_221 Depth=2
	s_wait_xcnt 0x0
	s_or_b32 exec_lo, exec_lo, s1
	scratch_load_b32 v1, off, off offset:44
	s_mov_b32 s1, exec_lo
                                        ; implicit-def: $sgpr0
	s_wait_loadcnt 0x0
	v_cmpx_ne_u32_e64 v0, v1
	s_xor_b32 s1, exec_lo, s1
	s_cbranch_execnz .LBB2_373
; %bb.295:                              ;   in Loop: Header=BB2_221 Depth=2
	s_and_not1_saveexec_b32 s1, s1
	s_cbranch_execnz .LBB2_374
.LBB2_296:                              ;   in Loop: Header=BB2_221 Depth=2
	s_or_b32 exec_lo, exec_lo, s1
	s_and_saveexec_b32 s1, s0
	s_cbranch_execz .LBB2_298
.LBB2_297:                              ;   in Loop: Header=BB2_221 Depth=2
	s_clause 0x1
	scratch_load_b128 v[0:3], off, s61
	scratch_load_b128 v[6:9], off, s60
	s_wait_loadcnt 0x1
	scratch_store_b128 off, v[0:3], s60
	scratch_load_b32 v0, off, off offset:28
	s_wait_loadcnt 0x1
	ds_store_2addr_b32 v97, v8, v9 offset0:2 offset1:3
	ds_store_2addr_b32 v97, v6, v7 offset1:1
	scratch_store_b128 off, v[6:9], s61
.LBB2_298:                              ;   in Loop: Header=BB2_221 Depth=2
	s_wait_xcnt 0x0
	s_or_b32 exec_lo, exec_lo, s1
	scratch_load_b32 v1, off, off offset:60
	s_mov_b32 s1, exec_lo
                                        ; implicit-def: $sgpr0
	s_wait_loadcnt 0x0
	v_cmpx_ne_u32_e64 v0, v1
	s_xor_b32 s1, exec_lo, s1
	s_cbranch_execnz .LBB2_379
; %bb.299:                              ;   in Loop: Header=BB2_221 Depth=2
	s_and_not1_saveexec_b32 s1, s1
	s_cbranch_execnz .LBB2_380
.LBB2_300:                              ;   in Loop: Header=BB2_221 Depth=2
	s_or_b32 exec_lo, exec_lo, s1
	s_and_saveexec_b32 s1, s0
	s_cbranch_execz .LBB2_302
.LBB2_301:                              ;   in Loop: Header=BB2_221 Depth=2
	s_clause 0x1
	scratch_load_b128 v[0:3], off, s60
	scratch_load_b128 v[6:9], off, s62
	s_wait_loadcnt 0x1
	ds_store_2addr_b32 v97, v2, v3 offset0:2 offset1:3
	ds_store_2addr_b32 v97, v0, v1 offset1:1
	s_wait_loadcnt 0x0
	s_clause 0x1
	scratch_store_b128 off, v[6:9], s60
	scratch_store_b128 off, v[0:3], s62
.LBB2_302:                              ;   in Loop: Header=BB2_221 Depth=2
	s_wait_xcnt 0x0
	s_or_b32 exec_lo, exec_lo, s1
	s_clause 0x1
	scratch_load_b32 v1, off, off offset:44
	scratch_load_b32 v0, off, off offset:12
	s_mov_b32 s1, exec_lo
                                        ; implicit-def: $sgpr0
	s_wait_loadcnt 0x0
	v_cmpx_ne_u32_e64 v1, v0
	s_xor_b32 s1, exec_lo, s1
	s_cbranch_execnz .LBB2_385
; %bb.303:                              ;   in Loop: Header=BB2_221 Depth=2
	s_and_not1_saveexec_b32 s1, s1
	s_cbranch_execnz .LBB2_386
.LBB2_304:                              ;   in Loop: Header=BB2_221 Depth=2
	s_or_b32 exec_lo, exec_lo, s1
	s_and_saveexec_b32 s1, s0
	s_cbranch_execz .LBB2_306
.LBB2_305:                              ;   in Loop: Header=BB2_221 Depth=2
	scratch_load_b128 v[0:3], off, off
	scratch_load_b128 v[6:9], off, s61
	s_wait_loadcnt 0x1
	scratch_store_b128 off, v[0:3], s61
	scratch_load_b32 v1, off, off offset:44
	s_wait_loadcnt 0x1
	ds_store_2addr_b32 v97, v8, v9 offset0:2 offset1:3
	ds_store_2addr_b32 v97, v6, v7 offset1:1
	scratch_store_b128 off, v[6:9], off
.LBB2_306:                              ;   in Loop: Header=BB2_221 Depth=2
	s_wait_xcnt 0x0
	s_or_b32 exec_lo, exec_lo, s1
	scratch_load_b32 v0, off, off offset:28
	s_mov_b32 s1, exec_lo
                                        ; implicit-def: $sgpr0
	s_wait_loadcnt 0x0
	v_cmpx_ne_u32_e64 v1, v0
	s_xor_b32 s1, exec_lo, s1
	s_cbranch_execnz .LBB2_391
; %bb.307:                              ;   in Loop: Header=BB2_221 Depth=2
	s_and_not1_saveexec_b32 s1, s1
	s_cbranch_execnz .LBB2_392
.LBB2_308:                              ;   in Loop: Header=BB2_221 Depth=2
	s_or_b32 exec_lo, exec_lo, s1
	s_and_saveexec_b32 s1, s0
	s_cbranch_execz .LBB2_310
.LBB2_309:                              ;   in Loop: Header=BB2_221 Depth=2
	s_clause 0x1
	scratch_load_b128 v[0:3], off, s60
	scratch_load_b128 v[6:9], off, s61
	s_wait_loadcnt 0x1
	scratch_store_b128 off, v[0:3], s61
	scratch_load_b32 v1, off, off offset:44
	s_wait_loadcnt 0x1
	ds_store_2addr_b32 v97, v8, v9 offset0:2 offset1:3
	ds_store_2addr_b32 v97, v6, v7 offset1:1
	scratch_store_b128 off, v[6:9], s60
.LBB2_310:                              ;   in Loop: Header=BB2_221 Depth=2
	s_wait_xcnt 0x0
	s_or_b32 exec_lo, exec_lo, s1
	scratch_load_b32 v0, off, off offset:60
	s_mov_b32 s1, exec_lo
                                        ; implicit-def: $sgpr0
	s_wait_loadcnt 0x0
	v_cmpx_ne_u32_e64 v1, v0
	s_xor_b32 s1, exec_lo, s1
	s_cbranch_execnz .LBB2_397
; %bb.311:                              ;   in Loop: Header=BB2_221 Depth=2
	s_and_not1_saveexec_b32 s1, s1
	s_cbranch_execnz .LBB2_398
.LBB2_312:                              ;   in Loop: Header=BB2_221 Depth=2
	s_or_b32 exec_lo, exec_lo, s1
	s_and_saveexec_b32 s1, s0
	s_cbranch_execz .LBB2_314
.LBB2_313:                              ;   in Loop: Header=BB2_221 Depth=2
	s_clause 0x1
	scratch_load_b128 v[6:9], off, s61
	scratch_load_b128 v[10:13], off, s62
	s_wait_loadcnt 0x1
	scratch_store_b128 off, v[6:9], s62
	s_wait_loadcnt 0x0
	scratch_store_b128 off, v[10:13], s61
	scratch_load_b32 v0, off, off offset:60
	ds_store_2addr_b32 v97, v8, v9 offset0:2 offset1:3
	ds_store_2addr_b32 v97, v6, v7 offset1:1
.LBB2_314:                              ;   in Loop: Header=BB2_221 Depth=2
	s_wait_xcnt 0x0
	s_or_b32 exec_lo, exec_lo, s1
	scratch_load_b32 v1, off, off offset:12
	s_mov_b32 s1, exec_lo
                                        ; implicit-def: $sgpr0
	s_wait_loadcnt 0x0
	v_cmpx_ne_u32_e64 v0, v1
	s_xor_b32 s1, exec_lo, s1
	s_cbranch_execnz .LBB2_403
; %bb.315:                              ;   in Loop: Header=BB2_221 Depth=2
	s_and_not1_saveexec_b32 s1, s1
	s_cbranch_execnz .LBB2_404
.LBB2_316:                              ;   in Loop: Header=BB2_221 Depth=2
	s_or_b32 exec_lo, exec_lo, s1
	s_and_saveexec_b32 s1, s0
	s_cbranch_execz .LBB2_318
.LBB2_317:                              ;   in Loop: Header=BB2_221 Depth=2
	scratch_load_b128 v[0:3], off, off
	scratch_load_b128 v[6:9], off, s62
	s_wait_loadcnt 0x1
	scratch_store_b128 off, v[0:3], s62
	scratch_load_b32 v0, off, off offset:60
	s_wait_loadcnt 0x1
	ds_store_2addr_b32 v97, v8, v9 offset0:2 offset1:3
	ds_store_2addr_b32 v97, v6, v7 offset1:1
	scratch_store_b128 off, v[6:9], off
.LBB2_318:                              ;   in Loop: Header=BB2_221 Depth=2
	s_wait_xcnt 0x0
	s_or_b32 exec_lo, exec_lo, s1
	scratch_load_b32 v1, off, off offset:28
	s_mov_b32 s1, exec_lo
                                        ; implicit-def: $sgpr0
	s_wait_loadcnt 0x0
	v_cmpx_ne_u32_e64 v0, v1
	s_xor_b32 s1, exec_lo, s1
	s_cbranch_execnz .LBB2_409
; %bb.319:                              ;   in Loop: Header=BB2_221 Depth=2
	s_and_not1_saveexec_b32 s1, s1
	s_cbranch_execnz .LBB2_410
.LBB2_320:                              ;   in Loop: Header=BB2_221 Depth=2
	s_or_b32 exec_lo, exec_lo, s1
	s_and_saveexec_b32 s1, s0
	s_cbranch_execz .LBB2_322
.LBB2_321:                              ;   in Loop: Header=BB2_221 Depth=2
	s_clause 0x1
	scratch_load_b128 v[0:3], off, s60
	scratch_load_b128 v[6:9], off, s62
	s_wait_loadcnt 0x1
	scratch_store_b128 off, v[0:3], s62
	scratch_load_b32 v0, off, off offset:60
	s_wait_loadcnt 0x1
	ds_store_2addr_b32 v97, v8, v9 offset0:2 offset1:3
	ds_store_2addr_b32 v97, v6, v7 offset1:1
	scratch_store_b128 off, v[6:9], s60
.LBB2_322:                              ;   in Loop: Header=BB2_221 Depth=2
	s_wait_xcnt 0x0
	s_or_b32 exec_lo, exec_lo, s1
	scratch_load_b32 v1, off, off offset:44
	s_mov_b32 s1, exec_lo
                                        ; implicit-def: $sgpr0
	s_wait_loadcnt 0x0
	v_cmpx_ne_u32_e64 v0, v1
	s_xor_b32 s1, exec_lo, s1
	s_cbranch_execnz .LBB2_415
; %bb.323:                              ;   in Loop: Header=BB2_221 Depth=2
	s_and_not1_saveexec_b32 s1, s1
	s_cbranch_execnz .LBB2_416
.LBB2_324:                              ;   in Loop: Header=BB2_221 Depth=2
	s_or_b32 exec_lo, exec_lo, s1
	s_and_saveexec_b32 s1, s0
	s_cbranch_execz .LBB2_326
.LBB2_325:                              ;   in Loop: Header=BB2_221 Depth=2
	s_clause 0x1
	scratch_load_b128 v[0:3], off, s62
	scratch_load_b128 v[6:9], off, s61
	s_wait_loadcnt 0x1
	ds_store_2addr_b32 v97, v2, v3 offset0:2 offset1:3
	ds_store_2addr_b32 v97, v0, v1 offset1:1
	s_wait_loadcnt 0x0
	s_clause 0x1
	scratch_store_b128 off, v[6:9], s62
	scratch_store_b128 off, v[0:3], s61
.LBB2_326:                              ;   in Loop: Header=BB2_221 Depth=2
	s_wait_xcnt 0x0
	s_or_b32 exec_lo, exec_lo, s1
	s_clause 0x1
	scratch_load_b32 v33, off, off offset:12
	scratch_load_b32 v32, off, off offset:28
	s_mov_b32 s19, exec_lo
	s_wait_loadcnt 0x0
	v_cmpx_lt_i32_e64 v33, v32
	s_cbranch_execz .LBB2_531
; %bb.327:                              ;   in Loop: Header=BB2_221 Depth=2
	s_load_b64 s[2:3], s[8:9], 0x50
	v_readfirstlane_b32 s0, v100
	v_mov_b64_e32 v[6:7], 0
	s_delay_alu instid0(VALU_DEP_2)
	v_cmp_eq_u32_e64 s0, s0, v100
	s_and_saveexec_b32 s1, s0
	s_cbranch_execz .LBB2_333
; %bb.328:                              ;   in Loop: Header=BB2_221 Depth=2
	s_wait_kmcnt 0x0
	global_load_b64 v[2:3], v45, s[2:3] offset:24 scope:SCOPE_SYS
	s_wait_loadcnt 0x0
	global_inv scope:SCOPE_SYS
	s_clause 0x1
	global_load_b64 v[0:1], v45, s[2:3] offset:40
	global_load_b64 v[6:7], v45, s[2:3]
	s_mov_b32 s4, exec_lo
	s_wait_loadcnt 0x1
	v_and_b32_e32 v0, v0, v2
	v_and_b32_e32 v1, v1, v3
	s_delay_alu instid0(VALU_DEP_1) | instskip(SKIP_1) | instid1(VALU_DEP_1)
	v_mul_u64_e32 v[0:1], 24, v[0:1]
	s_wait_loadcnt 0x0
	v_add_nc_u64_e32 v[0:1], v[6:7], v[0:1]
	global_load_b64 v[0:1], v[0:1], off scope:SCOPE_SYS
	s_wait_xcnt 0x0
	s_wait_loadcnt 0x0
	global_atomic_cmpswap_b64 v[6:7], v45, v[0:3], s[2:3] offset:24 th:TH_ATOMIC_RETURN scope:SCOPE_SYS
	s_wait_loadcnt 0x0
	global_inv scope:SCOPE_SYS
	s_wait_xcnt 0x0
	v_cmpx_ne_u64_e64 v[6:7], v[2:3]
	s_cbranch_execz .LBB2_332
; %bb.329:                              ;   in Loop: Header=BB2_221 Depth=2
	s_mov_b32 s5, 0
.LBB2_330:                              ;   Parent Loop BB2_13 Depth=1
                                        ;     Parent Loop BB2_221 Depth=2
                                        ; =>    This Inner Loop Header: Depth=3
	s_sleep 1
	s_clause 0x1
	global_load_b64 v[0:1], v45, s[2:3] offset:40
	global_load_b64 v[8:9], v45, s[2:3]
	v_mov_b64_e32 v[2:3], v[6:7]
	s_wait_loadcnt 0x1
	s_delay_alu instid0(VALU_DEP_1) | instskip(SKIP_1) | instid1(VALU_DEP_1)
	v_and_b32_e32 v0, v0, v2
	s_wait_loadcnt 0x0
	v_mad_nc_u64_u32 v[6:7], v0, 24, v[8:9]
	s_delay_alu instid0(VALU_DEP_3) | instskip(NEXT) | instid1(VALU_DEP_1)
	v_and_b32_e32 v0, v1, v3
	v_mad_u32 v7, v0, 24, v7
	global_load_b64 v[0:1], v[6:7], off scope:SCOPE_SYS
	s_wait_xcnt 0x0
	s_wait_loadcnt 0x0
	global_atomic_cmpswap_b64 v[6:7], v45, v[0:3], s[2:3] offset:24 th:TH_ATOMIC_RETURN scope:SCOPE_SYS
	s_wait_loadcnt 0x0
	global_inv scope:SCOPE_SYS
	v_cmp_eq_u64_e32 vcc_lo, v[6:7], v[2:3]
	s_or_b32 s5, vcc_lo, s5
	s_wait_xcnt 0x0
	s_and_not1_b32 exec_lo, exec_lo, s5
	s_cbranch_execnz .LBB2_330
; %bb.331:                              ;   in Loop: Header=BB2_221 Depth=2
	s_or_b32 exec_lo, exec_lo, s5
.LBB2_332:                              ;   in Loop: Header=BB2_221 Depth=2
	s_delay_alu instid0(SALU_CYCLE_1)
	s_or_b32 exec_lo, exec_lo, s4
.LBB2_333:                              ;   in Loop: Header=BB2_221 Depth=2
	s_delay_alu instid0(SALU_CYCLE_1)
	s_or_b32 exec_lo, exec_lo, s1
	s_wait_kmcnt 0x0
	s_clause 0x1
	global_load_b64 v[8:9], v45, s[2:3] offset:40
	global_load_b128 v[0:3], v45, s[2:3]
	v_readfirstlane_b32 s4, v6
	v_readfirstlane_b32 s5, v7
	s_mov_b32 s1, exec_lo
	s_wait_loadcnt 0x1
	v_and_b32_e32 v8, s4, v8
	v_and_b32_e32 v9, s5, v9
	s_delay_alu instid0(VALU_DEP_1) | instskip(SKIP_1) | instid1(VALU_DEP_1)
	v_mul_u64_e32 v[6:7], 24, v[8:9]
	s_wait_loadcnt 0x0
	v_add_nc_u64_e32 v[6:7], v[0:1], v[6:7]
	s_wait_xcnt 0x0
	s_and_saveexec_b32 s6, s0
	s_cbranch_execz .LBB2_335
; %bb.334:                              ;   in Loop: Header=BB2_221 Depth=2
	v_mov_b32_e32 v44, s1
	global_store_b128 v[6:7], v[44:47], off offset:8
.LBB2_335:                              ;   in Loop: Header=BB2_221 Depth=2
	s_wait_xcnt 0x0
	s_or_b32 exec_lo, exec_lo, s6
	v_lshlrev_b64_e32 v[8:9], 12, v[8:9]
	s_mov_b32 s41, s40
	s_mov_b32 s42, s40
	s_mov_b32 s43, s40
	v_mov_b64_e32 v[10:11], s[40:41]
	v_mov_b64_e32 v[12:13], s[42:43]
	v_dual_mov_b32 v55, v45 :: v_dual_lshlrev_b32 v28, 6, v100
	v_add_nc_u64_e32 v[8:9], v[2:3], v[8:9]
	v_dual_mov_b32 v56, v45 :: v_dual_mov_b32 v57, v45
	s_delay_alu instid0(VALU_DEP_2) | instskip(NEXT) | instid1(VALU_DEP_3)
	v_readfirstlane_b32 s6, v8
	v_readfirstlane_b32 s7, v9
	s_clause 0x3
	global_store_b128 v28, v[54:57], s[6:7]
	global_store_b128 v28, v[10:13], s[6:7] offset:16
	global_store_b128 v28, v[10:13], s[6:7] offset:32
	;; [unrolled: 1-line block ×3, first 2 shown]
	s_wait_xcnt 0x0
	s_and_saveexec_b32 s1, s0
	s_cbranch_execz .LBB2_343
; %bb.336:                              ;   in Loop: Header=BB2_221 Depth=2
	s_clause 0x1
	global_load_b64 v[14:15], v45, s[2:3] offset:32 scope:SCOPE_SYS
	global_load_b64 v[2:3], v45, s[2:3] offset:40
	s_mov_b32 s6, exec_lo
	v_dual_mov_b32 v12, s4 :: v_dual_mov_b32 v13, s5
	s_wait_loadcnt 0x0
	v_and_b32_e32 v3, s5, v3
	v_and_b32_e32 v2, s4, v2
	s_delay_alu instid0(VALU_DEP_1) | instskip(NEXT) | instid1(VALU_DEP_1)
	v_mul_u64_e32 v[2:3], 24, v[2:3]
	v_add_nc_u64_e32 v[10:11], v[0:1], v[2:3]
	global_store_b64 v[10:11], v[14:15], off
	global_wb scope:SCOPE_SYS
	s_wait_storecnt 0x0
	s_wait_xcnt 0x0
	global_atomic_cmpswap_b64 v[2:3], v45, v[12:15], s[2:3] offset:32 th:TH_ATOMIC_RETURN scope:SCOPE_SYS
	s_wait_loadcnt 0x0
	v_cmpx_ne_u64_e64 v[2:3], v[14:15]
	s_cbranch_execz .LBB2_339
; %bb.337:                              ;   in Loop: Header=BB2_221 Depth=2
	s_mov_b32 s7, 0
.LBB2_338:                              ;   Parent Loop BB2_13 Depth=1
                                        ;     Parent Loop BB2_221 Depth=2
                                        ; =>    This Inner Loop Header: Depth=3
	v_dual_mov_b32 v0, s4 :: v_dual_mov_b32 v1, s5
	s_sleep 1
	global_store_b64 v[10:11], v[2:3], off
	global_wb scope:SCOPE_SYS
	s_wait_storecnt 0x0
	s_wait_xcnt 0x0
	global_atomic_cmpswap_b64 v[0:1], v45, v[0:3], s[2:3] offset:32 th:TH_ATOMIC_RETURN scope:SCOPE_SYS
	s_wait_loadcnt 0x0
	v_cmp_eq_u64_e32 vcc_lo, v[0:1], v[2:3]
	v_mov_b64_e32 v[2:3], v[0:1]
	s_or_b32 s7, vcc_lo, s7
	s_delay_alu instid0(SALU_CYCLE_1)
	s_and_not1_b32 exec_lo, exec_lo, s7
	s_cbranch_execnz .LBB2_338
.LBB2_339:                              ;   in Loop: Header=BB2_221 Depth=2
	s_or_b32 exec_lo, exec_lo, s6
	global_load_b64 v[0:1], v45, s[2:3] offset:16
	s_mov_b32 s7, exec_lo
	s_mov_b32 s6, exec_lo
	v_mbcnt_lo_u32_b32 v2, s7, 0
	s_wait_xcnt 0x0
	s_delay_alu instid0(VALU_DEP_1)
	v_cmpx_eq_u32_e32 0, v2
	s_cbranch_execz .LBB2_341
; %bb.340:                              ;   in Loop: Header=BB2_221 Depth=2
	s_bcnt1_i32_b32 s7, s7
	s_delay_alu instid0(SALU_CYCLE_1)
	v_mov_b32_e32 v44, s7
	global_wb scope:SCOPE_SYS
	s_wait_loadcnt 0x0
	s_wait_storecnt 0x0
	global_atomic_add_u64 v[0:1], v[44:45], off offset:8 scope:SCOPE_SYS
.LBB2_341:                              ;   in Loop: Header=BB2_221 Depth=2
	s_wait_xcnt 0x0
	s_or_b32 exec_lo, exec_lo, s6
	s_wait_loadcnt 0x0
	global_load_b64 v[2:3], v[0:1], off offset:16
	s_wait_loadcnt 0x0
	v_cmp_eq_u64_e32 vcc_lo, 0, v[2:3]
	s_cbranch_vccnz .LBB2_343
; %bb.342:                              ;   in Loop: Header=BB2_221 Depth=2
	global_load_b32 v44, v[0:1], off offset:24
	s_wait_loadcnt 0x0
	v_readfirstlane_b32 s6, v44
	global_wb scope:SCOPE_SYS
	s_wait_storecnt 0x0
	s_wait_xcnt 0x0
	global_store_b64 v[2:3], v[44:45], off scope:SCOPE_SYS
	s_and_b32 m0, s6, 0xffffff
	s_sendmsg sendmsg(MSG_INTERRUPT)
.LBB2_343:                              ;   in Loop: Header=BB2_221 Depth=2
	s_wait_xcnt 0x0
	s_or_b32 exec_lo, exec_lo, s1
	v_mov_b32_e32 v29, v45
	s_delay_alu instid0(VALU_DEP_1)
	v_add_nc_u64_e32 v[0:1], v[8:9], v[28:29]
	s_branch .LBB2_347
.LBB2_344:                              ;   in Loop: Header=BB2_347 Depth=3
	s_wait_xcnt 0x0
	s_or_b32 exec_lo, exec_lo, s1
	s_delay_alu instid0(VALU_DEP_1)
	v_readfirstlane_b32 s1, v2
	s_cmp_eq_u32 s1, 0
	s_cbranch_scc1 .LBB2_346
; %bb.345:                              ;   in Loop: Header=BB2_347 Depth=3
	s_sleep 1
	s_cbranch_execnz .LBB2_347
	s_branch .LBB2_421
.LBB2_346:                              ;   in Loop: Header=BB2_221 Depth=2
	s_branch .LBB2_421
.LBB2_347:                              ;   Parent Loop BB2_13 Depth=1
                                        ;     Parent Loop BB2_221 Depth=2
                                        ; =>    This Inner Loop Header: Depth=3
	v_mov_b32_e32 v2, 1
	s_and_saveexec_b32 s1, s0
	s_cbranch_execz .LBB2_344
; %bb.348:                              ;   in Loop: Header=BB2_347 Depth=3
	global_load_b32 v2, v[6:7], off offset:20 scope:SCOPE_SYS
	s_wait_loadcnt 0x0
	global_inv scope:SCOPE_SYS
	v_and_b32_e32 v2, 1, v2
	s_branch .LBB2_344
.LBB2_349:                              ;   in Loop: Header=BB2_221 Depth=2
	v_cmp_gt_u32_e64 s0, v16, v18
	s_and_not1_saveexec_b32 s1, s1
	s_cbranch_execz .LBB2_280
.LBB2_350:                              ;   in Loop: Header=BB2_221 Depth=2
	s_mov_b32 s3, exec_lo
                                        ; implicit-def: $sgpr2
	v_cmpx_ne_u32_e64 v6, v7
	s_xor_b32 s3, exec_lo, s3
; %bb.351:                              ;   in Loop: Header=BB2_221 Depth=2
	v_cmp_gt_u32_e64 s2, v6, v7
; %bb.352:                              ;   in Loop: Header=BB2_221 Depth=2
	s_and_not1_saveexec_b32 s3, s3
; %bb.353:                              ;   in Loop: Header=BB2_221 Depth=2
	v_cmp_ge_u32_e32 vcc_lo, v0, v1
	s_delay_alu instid0(VALU_DEP_2) | instskip(SKIP_1) | instid1(SALU_CYCLE_1)
	s_and_not1_b32 s2, s2, exec_lo
	s_and_b32 s4, vcc_lo, exec_lo
	s_or_b32 s2, s2, s4
; %bb.354:                              ;   in Loop: Header=BB2_221 Depth=2
	s_or_b32 exec_lo, exec_lo, s3
	s_delay_alu instid0(SALU_CYCLE_1) | instskip(SKIP_1) | instid1(SALU_CYCLE_1)
	s_and_not1_b32 s0, s0, exec_lo
	s_and_b32 s2, s2, exec_lo
	s_or_b32 s0, s0, s2
	s_or_b32 exec_lo, exec_lo, s1
	s_and_saveexec_b32 s1, s0
	s_cbranch_execnz .LBB2_281
	s_branch .LBB2_282
.LBB2_355:                              ;   in Loop: Header=BB2_221 Depth=2
	v_cmp_gt_u32_e64 s0, v16, v11
	s_and_not1_saveexec_b32 s1, s1
	s_cbranch_execz .LBB2_284
.LBB2_356:                              ;   in Loop: Header=BB2_221 Depth=2
	scratch_load_b32 v0, off, off offset:4
	s_mov_b32 s3, exec_lo
                                        ; implicit-def: $sgpr2
	s_wait_loadcnt 0x0
	v_cmpx_ne_u32_e64 v0, v8
	s_xor_b32 s3, exec_lo, s3
; %bb.357:                              ;   in Loop: Header=BB2_221 Depth=2
	v_cmp_gt_u32_e64 s2, v0, v8
; %bb.358:                              ;   in Loop: Header=BB2_221 Depth=2
	s_and_not1_saveexec_b32 s3, s3
	s_cbranch_execz .LBB2_360
; %bb.359:                              ;   in Loop: Header=BB2_221 Depth=2
	scratch_load_b32 v0, off, off offset:8
	s_and_not1_b32 s2, s2, exec_lo
	s_wait_loadcnt 0x0
	v_cmp_ge_u32_e32 vcc_lo, v0, v2
	s_and_b32 s4, vcc_lo, exec_lo
	s_delay_alu instid0(SALU_CYCLE_1)
	s_or_b32 s2, s2, s4
.LBB2_360:                              ;   in Loop: Header=BB2_221 Depth=2
	s_wait_xcnt 0x0
	s_or_b32 exec_lo, exec_lo, s3
	s_delay_alu instid0(SALU_CYCLE_1) | instskip(SKIP_1) | instid1(SALU_CYCLE_1)
	s_and_not1_b32 s0, s0, exec_lo
	s_and_b32 s2, s2, exec_lo
	s_or_b32 s0, s0, s2
	s_or_b32 exec_lo, exec_lo, s1
	s_and_saveexec_b32 s1, s0
	s_cbranch_execnz .LBB2_285
	s_branch .LBB2_286
.LBB2_361:                              ;   in Loop: Header=BB2_221 Depth=2
	v_cmp_gt_u32_e64 s0, v16, v17
                                        ; implicit-def: $vgpr0_vgpr1_vgpr2_vgpr3
                                        ; implicit-def: $vgpr6_vgpr7_vgpr8_vgpr9
	s_and_not1_saveexec_b32 s1, s1
	s_cbranch_execz .LBB2_288
.LBB2_362:                              ;   in Loop: Header=BB2_221 Depth=2
	scratch_load_b32 v0, off, off offset:4
	s_mov_b32 s3, exec_lo
                                        ; implicit-def: $sgpr2
	s_wait_loadcnt 0x0
	v_cmpx_ne_u32_e64 v0, v9
	s_xor_b32 s3, exec_lo, s3
; %bb.363:                              ;   in Loop: Header=BB2_221 Depth=2
	v_cmp_gt_u32_e64 s2, v0, v9
                                        ; implicit-def: $vgpr0_vgpr1_vgpr2_vgpr3
; %bb.364:                              ;   in Loop: Header=BB2_221 Depth=2
	s_and_not1_saveexec_b32 s3, s3
	s_cbranch_execz .LBB2_366
; %bb.365:                              ;   in Loop: Header=BB2_221 Depth=2
	scratch_load_b32 v0, off, off offset:8
	s_and_not1_b32 s2, s2, exec_lo
	s_wait_loadcnt 0x0
	v_cmp_ge_u32_e32 vcc_lo, v0, v3
	s_and_b32 s4, vcc_lo, exec_lo
	s_delay_alu instid0(SALU_CYCLE_1)
	s_or_b32 s2, s2, s4
.LBB2_366:                              ;   in Loop: Header=BB2_221 Depth=2
	s_wait_xcnt 0x0
	s_or_b32 exec_lo, exec_lo, s3
	s_delay_alu instid0(SALU_CYCLE_1) | instskip(SKIP_1) | instid1(SALU_CYCLE_1)
	s_and_not1_b32 s0, s0, exec_lo
	s_and_b32 s2, s2, exec_lo
	s_or_b32 s0, s0, s2
	s_or_b32 exec_lo, exec_lo, s1
	s_and_saveexec_b32 s1, s0
	s_cbranch_execnz .LBB2_289
	s_branch .LBB2_290
.LBB2_367:                              ;   in Loop: Header=BB2_221 Depth=2
	v_cmp_gt_u32_e64 s0, v0, v16
	s_and_not1_saveexec_b32 s1, s1
	s_cbranch_execz .LBB2_292
.LBB2_368:                              ;   in Loop: Header=BB2_221 Depth=2
	s_clause 0x1
	scratch_load_b32 v1, off, off offset:20
	scratch_load_b32 v2, off, off offset:4
	s_mov_b32 s3, exec_lo
                                        ; implicit-def: $sgpr2
	s_wait_loadcnt 0x0
	v_cmpx_ne_u32_e64 v1, v2
	s_xor_b32 s3, exec_lo, s3
; %bb.369:                              ;   in Loop: Header=BB2_221 Depth=2
	v_cmp_gt_u32_e64 s2, v1, v2
; %bb.370:                              ;   in Loop: Header=BB2_221 Depth=2
	s_and_not1_saveexec_b32 s3, s3
	s_cbranch_execz .LBB2_372
; %bb.371:                              ;   in Loop: Header=BB2_221 Depth=2
	s_clause 0x1
	scratch_load_b32 v1, off, off offset:8
	scratch_load_b32 v2, off, off offset:24
	s_and_not1_b32 s2, s2, exec_lo
	s_wait_loadcnt 0x0
	v_cmp_ge_u32_e32 vcc_lo, v2, v1
	s_and_b32 s4, vcc_lo, exec_lo
	s_delay_alu instid0(SALU_CYCLE_1)
	s_or_b32 s2, s2, s4
.LBB2_372:                              ;   in Loop: Header=BB2_221 Depth=2
	s_wait_xcnt 0x0
	s_or_b32 exec_lo, exec_lo, s3
	s_delay_alu instid0(SALU_CYCLE_1) | instskip(SKIP_1) | instid1(SALU_CYCLE_1)
	s_and_not1_b32 s0, s0, exec_lo
	s_and_b32 s2, s2, exec_lo
	s_or_b32 s0, s0, s2
	s_or_b32 exec_lo, exec_lo, s1
	s_and_saveexec_b32 s1, s0
	s_cbranch_execnz .LBB2_293
	s_branch .LBB2_294
.LBB2_373:                              ;   in Loop: Header=BB2_221 Depth=2
	v_cmp_gt_u32_e64 s0, v0, v1
	s_and_not1_saveexec_b32 s1, s1
	s_cbranch_execz .LBB2_296
.LBB2_374:                              ;   in Loop: Header=BB2_221 Depth=2
	s_clause 0x1
	scratch_load_b32 v1, off, off offset:20
	scratch_load_b32 v2, off, off offset:36
	s_mov_b32 s3, exec_lo
                                        ; implicit-def: $sgpr2
	s_wait_loadcnt 0x0
	v_cmpx_ne_u32_e64 v1, v2
	s_xor_b32 s3, exec_lo, s3
; %bb.375:                              ;   in Loop: Header=BB2_221 Depth=2
	v_cmp_gt_u32_e64 s2, v1, v2
; %bb.376:                              ;   in Loop: Header=BB2_221 Depth=2
	s_and_not1_saveexec_b32 s3, s3
	s_cbranch_execz .LBB2_378
; %bb.377:                              ;   in Loop: Header=BB2_221 Depth=2
	s_clause 0x1
	scratch_load_b32 v1, off, off offset:40
	scratch_load_b32 v2, off, off offset:24
	s_and_not1_b32 s2, s2, exec_lo
	s_wait_loadcnt 0x0
	v_cmp_ge_u32_e32 vcc_lo, v2, v1
	s_and_b32 s4, vcc_lo, exec_lo
	s_delay_alu instid0(SALU_CYCLE_1)
	s_or_b32 s2, s2, s4
.LBB2_378:                              ;   in Loop: Header=BB2_221 Depth=2
	s_wait_xcnt 0x0
	s_or_b32 exec_lo, exec_lo, s3
	s_delay_alu instid0(SALU_CYCLE_1) | instskip(SKIP_1) | instid1(SALU_CYCLE_1)
	s_and_not1_b32 s0, s0, exec_lo
	s_and_b32 s2, s2, exec_lo
	s_or_b32 s0, s0, s2
	s_or_b32 exec_lo, exec_lo, s1
	s_and_saveexec_b32 s1, s0
	s_cbranch_execnz .LBB2_297
	s_branch .LBB2_298
.LBB2_379:                              ;   in Loop: Header=BB2_221 Depth=2
	v_cmp_gt_u32_e64 s0, v0, v1
	s_and_not1_saveexec_b32 s1, s1
	s_cbranch_execz .LBB2_300
.LBB2_380:                              ;   in Loop: Header=BB2_221 Depth=2
	s_clause 0x1
	scratch_load_b32 v0, off, off offset:20
	scratch_load_b32 v1, off, off offset:52
	s_mov_b32 s3, exec_lo
                                        ; implicit-def: $sgpr2
	s_wait_loadcnt 0x0
	v_cmpx_ne_u32_e64 v0, v1
	s_xor_b32 s3, exec_lo, s3
; %bb.381:                              ;   in Loop: Header=BB2_221 Depth=2
	v_cmp_gt_u32_e64 s2, v0, v1
; %bb.382:                              ;   in Loop: Header=BB2_221 Depth=2
	s_and_not1_saveexec_b32 s3, s3
	s_cbranch_execz .LBB2_384
; %bb.383:                              ;   in Loop: Header=BB2_221 Depth=2
	s_clause 0x1
	scratch_load_b32 v0, off, off offset:56
	scratch_load_b32 v1, off, off offset:24
	s_and_not1_b32 s2, s2, exec_lo
	s_wait_loadcnt 0x0
	v_cmp_ge_u32_e32 vcc_lo, v1, v0
	s_and_b32 s4, vcc_lo, exec_lo
	s_delay_alu instid0(SALU_CYCLE_1)
	s_or_b32 s2, s2, s4
.LBB2_384:                              ;   in Loop: Header=BB2_221 Depth=2
	s_wait_xcnt 0x0
	s_or_b32 exec_lo, exec_lo, s3
	s_delay_alu instid0(SALU_CYCLE_1) | instskip(SKIP_1) | instid1(SALU_CYCLE_1)
	s_and_not1_b32 s0, s0, exec_lo
	s_and_b32 s2, s2, exec_lo
	s_or_b32 s0, s0, s2
	s_or_b32 exec_lo, exec_lo, s1
	s_and_saveexec_b32 s1, s0
	s_cbranch_execnz .LBB2_301
	s_branch .LBB2_302
.LBB2_385:                              ;   in Loop: Header=BB2_221 Depth=2
	v_cmp_gt_u32_e64 s0, v1, v0
	s_and_not1_saveexec_b32 s1, s1
	s_cbranch_execz .LBB2_304
.LBB2_386:                              ;   in Loop: Header=BB2_221 Depth=2
	s_clause 0x1
	scratch_load_b32 v0, off, off offset:36
	scratch_load_b32 v2, off, off offset:4
	s_mov_b32 s3, exec_lo
                                        ; implicit-def: $sgpr2
	s_wait_loadcnt 0x0
	v_cmpx_ne_u32_e64 v0, v2
	s_xor_b32 s3, exec_lo, s3
; %bb.387:                              ;   in Loop: Header=BB2_221 Depth=2
	v_cmp_gt_u32_e64 s2, v0, v2
; %bb.388:                              ;   in Loop: Header=BB2_221 Depth=2
	s_and_not1_saveexec_b32 s3, s3
	s_cbranch_execz .LBB2_390
; %bb.389:                              ;   in Loop: Header=BB2_221 Depth=2
	s_clause 0x1
	scratch_load_b32 v0, off, off offset:8
	scratch_load_b32 v2, off, off offset:40
	s_and_not1_b32 s2, s2, exec_lo
	s_wait_loadcnt 0x0
	v_cmp_ge_u32_e32 vcc_lo, v2, v0
	s_and_b32 s4, vcc_lo, exec_lo
	s_delay_alu instid0(SALU_CYCLE_1)
	s_or_b32 s2, s2, s4
.LBB2_390:                              ;   in Loop: Header=BB2_221 Depth=2
	s_wait_xcnt 0x0
	s_or_b32 exec_lo, exec_lo, s3
	s_delay_alu instid0(SALU_CYCLE_1) | instskip(SKIP_1) | instid1(SALU_CYCLE_1)
	s_and_not1_b32 s0, s0, exec_lo
	s_and_b32 s2, s2, exec_lo
	s_or_b32 s0, s0, s2
	s_or_b32 exec_lo, exec_lo, s1
	s_and_saveexec_b32 s1, s0
	s_cbranch_execnz .LBB2_305
	s_branch .LBB2_306
.LBB2_391:                              ;   in Loop: Header=BB2_221 Depth=2
	v_cmp_gt_u32_e64 s0, v1, v0
	s_and_not1_saveexec_b32 s1, s1
	s_cbranch_execz .LBB2_308
.LBB2_392:                              ;   in Loop: Header=BB2_221 Depth=2
	s_clause 0x1
	scratch_load_b32 v0, off, off offset:36
	scratch_load_b32 v2, off, off offset:20
	s_mov_b32 s3, exec_lo
                                        ; implicit-def: $sgpr2
	s_wait_loadcnt 0x0
	v_cmpx_ne_u32_e64 v0, v2
	s_xor_b32 s3, exec_lo, s3
; %bb.393:                              ;   in Loop: Header=BB2_221 Depth=2
	v_cmp_gt_u32_e64 s2, v0, v2
; %bb.394:                              ;   in Loop: Header=BB2_221 Depth=2
	s_and_not1_saveexec_b32 s3, s3
	s_cbranch_execz .LBB2_396
; %bb.395:                              ;   in Loop: Header=BB2_221 Depth=2
	s_clause 0x1
	scratch_load_b32 v0, off, off offset:24
	scratch_load_b32 v2, off, off offset:40
	s_and_not1_b32 s2, s2, exec_lo
	s_wait_loadcnt 0x0
	v_cmp_ge_u32_e32 vcc_lo, v2, v0
	s_and_b32 s4, vcc_lo, exec_lo
	s_delay_alu instid0(SALU_CYCLE_1)
	s_or_b32 s2, s2, s4
.LBB2_396:                              ;   in Loop: Header=BB2_221 Depth=2
	s_wait_xcnt 0x0
	s_or_b32 exec_lo, exec_lo, s3
	s_delay_alu instid0(SALU_CYCLE_1) | instskip(SKIP_1) | instid1(SALU_CYCLE_1)
	s_and_not1_b32 s0, s0, exec_lo
	s_and_b32 s2, s2, exec_lo
	s_or_b32 s0, s0, s2
	s_or_b32 exec_lo, exec_lo, s1
	s_and_saveexec_b32 s1, s0
	s_cbranch_execnz .LBB2_309
	s_branch .LBB2_310
.LBB2_397:                              ;   in Loop: Header=BB2_221 Depth=2
	v_cmp_gt_u32_e64 s0, v1, v0
	s_and_not1_saveexec_b32 s1, s1
	s_cbranch_execz .LBB2_312
.LBB2_398:                              ;   in Loop: Header=BB2_221 Depth=2
	s_clause 0x1
	scratch_load_b32 v1, off, off offset:36
	scratch_load_b32 v2, off, off offset:52
	s_mov_b32 s3, exec_lo
                                        ; implicit-def: $sgpr2
	s_wait_loadcnt 0x0
	v_cmpx_ne_u32_e64 v1, v2
	s_xor_b32 s3, exec_lo, s3
; %bb.399:                              ;   in Loop: Header=BB2_221 Depth=2
	v_cmp_gt_u32_e64 s2, v1, v2
; %bb.400:                              ;   in Loop: Header=BB2_221 Depth=2
	s_and_not1_saveexec_b32 s3, s3
	s_cbranch_execz .LBB2_402
; %bb.401:                              ;   in Loop: Header=BB2_221 Depth=2
	s_clause 0x1
	scratch_load_b32 v1, off, off offset:56
	scratch_load_b32 v2, off, off offset:40
	s_and_not1_b32 s2, s2, exec_lo
	s_wait_loadcnt 0x0
	v_cmp_ge_u32_e32 vcc_lo, v2, v1
	s_and_b32 s4, vcc_lo, exec_lo
	s_delay_alu instid0(SALU_CYCLE_1)
	s_or_b32 s2, s2, s4
.LBB2_402:                              ;   in Loop: Header=BB2_221 Depth=2
	s_wait_xcnt 0x0
	s_or_b32 exec_lo, exec_lo, s3
	s_delay_alu instid0(SALU_CYCLE_1) | instskip(SKIP_1) | instid1(SALU_CYCLE_1)
	s_and_not1_b32 s0, s0, exec_lo
	s_and_b32 s2, s2, exec_lo
	s_or_b32 s0, s0, s2
	s_or_b32 exec_lo, exec_lo, s1
	s_and_saveexec_b32 s1, s0
	s_cbranch_execnz .LBB2_313
	s_branch .LBB2_314
.LBB2_403:                              ;   in Loop: Header=BB2_221 Depth=2
	v_cmp_gt_u32_e64 s0, v0, v1
	s_and_not1_saveexec_b32 s1, s1
	s_cbranch_execz .LBB2_316
.LBB2_404:                              ;   in Loop: Header=BB2_221 Depth=2
	s_clause 0x1
	scratch_load_b32 v1, off, off offset:52
	scratch_load_b32 v2, off, off offset:4
	s_mov_b32 s3, exec_lo
                                        ; implicit-def: $sgpr2
	s_wait_loadcnt 0x0
	v_cmpx_ne_u32_e64 v1, v2
	s_xor_b32 s3, exec_lo, s3
; %bb.405:                              ;   in Loop: Header=BB2_221 Depth=2
	v_cmp_gt_u32_e64 s2, v1, v2
; %bb.406:                              ;   in Loop: Header=BB2_221 Depth=2
	s_and_not1_saveexec_b32 s3, s3
	s_cbranch_execz .LBB2_408
; %bb.407:                              ;   in Loop: Header=BB2_221 Depth=2
	s_clause 0x1
	scratch_load_b32 v1, off, off offset:8
	scratch_load_b32 v2, off, off offset:56
	s_and_not1_b32 s2, s2, exec_lo
	s_wait_loadcnt 0x0
	v_cmp_ge_u32_e32 vcc_lo, v2, v1
	s_and_b32 s4, vcc_lo, exec_lo
	s_delay_alu instid0(SALU_CYCLE_1)
	s_or_b32 s2, s2, s4
.LBB2_408:                              ;   in Loop: Header=BB2_221 Depth=2
	s_wait_xcnt 0x0
	s_or_b32 exec_lo, exec_lo, s3
	s_delay_alu instid0(SALU_CYCLE_1) | instskip(SKIP_1) | instid1(SALU_CYCLE_1)
	s_and_not1_b32 s0, s0, exec_lo
	s_and_b32 s2, s2, exec_lo
	s_or_b32 s0, s0, s2
	s_or_b32 exec_lo, exec_lo, s1
	s_and_saveexec_b32 s1, s0
	s_cbranch_execnz .LBB2_317
	s_branch .LBB2_318
.LBB2_409:                              ;   in Loop: Header=BB2_221 Depth=2
	v_cmp_gt_u32_e64 s0, v0, v1
	s_and_not1_saveexec_b32 s1, s1
	s_cbranch_execz .LBB2_320
.LBB2_410:                              ;   in Loop: Header=BB2_221 Depth=2
	s_clause 0x1
	scratch_load_b32 v1, off, off offset:52
	scratch_load_b32 v2, off, off offset:20
	s_mov_b32 s3, exec_lo
                                        ; implicit-def: $sgpr2
	s_wait_loadcnt 0x0
	v_cmpx_ne_u32_e64 v1, v2
	s_xor_b32 s3, exec_lo, s3
; %bb.411:                              ;   in Loop: Header=BB2_221 Depth=2
	v_cmp_gt_u32_e64 s2, v1, v2
; %bb.412:                              ;   in Loop: Header=BB2_221 Depth=2
	s_and_not1_saveexec_b32 s3, s3
	s_cbranch_execz .LBB2_414
; %bb.413:                              ;   in Loop: Header=BB2_221 Depth=2
	s_clause 0x1
	scratch_load_b32 v1, off, off offset:24
	scratch_load_b32 v2, off, off offset:56
	s_and_not1_b32 s2, s2, exec_lo
	s_wait_loadcnt 0x0
	v_cmp_ge_u32_e32 vcc_lo, v2, v1
	s_and_b32 s4, vcc_lo, exec_lo
	s_delay_alu instid0(SALU_CYCLE_1)
	s_or_b32 s2, s2, s4
.LBB2_414:                              ;   in Loop: Header=BB2_221 Depth=2
	s_wait_xcnt 0x0
	s_or_b32 exec_lo, exec_lo, s3
	s_delay_alu instid0(SALU_CYCLE_1) | instskip(SKIP_1) | instid1(SALU_CYCLE_1)
	s_and_not1_b32 s0, s0, exec_lo
	s_and_b32 s2, s2, exec_lo
	s_or_b32 s0, s0, s2
	s_or_b32 exec_lo, exec_lo, s1
	s_and_saveexec_b32 s1, s0
	s_cbranch_execnz .LBB2_321
	s_branch .LBB2_322
.LBB2_415:                              ;   in Loop: Header=BB2_221 Depth=2
	v_cmp_gt_u32_e64 s0, v0, v1
	s_and_not1_saveexec_b32 s1, s1
	s_cbranch_execz .LBB2_324
.LBB2_416:                              ;   in Loop: Header=BB2_221 Depth=2
	s_clause 0x1
	scratch_load_b32 v0, off, off offset:52
	scratch_load_b32 v1, off, off offset:36
	s_mov_b32 s3, exec_lo
                                        ; implicit-def: $sgpr2
	s_wait_loadcnt 0x0
	v_cmpx_ne_u32_e64 v0, v1
	s_xor_b32 s3, exec_lo, s3
; %bb.417:                              ;   in Loop: Header=BB2_221 Depth=2
	v_cmp_gt_u32_e64 s2, v0, v1
; %bb.418:                              ;   in Loop: Header=BB2_221 Depth=2
	s_and_not1_saveexec_b32 s3, s3
	s_cbranch_execz .LBB2_420
; %bb.419:                              ;   in Loop: Header=BB2_221 Depth=2
	s_clause 0x1
	scratch_load_b32 v0, off, off offset:40
	scratch_load_b32 v1, off, off offset:56
	s_and_not1_b32 s2, s2, exec_lo
	s_wait_loadcnt 0x0
	v_cmp_ge_u32_e32 vcc_lo, v1, v0
	s_and_b32 s4, vcc_lo, exec_lo
	s_delay_alu instid0(SALU_CYCLE_1)
	s_or_b32 s2, s2, s4
.LBB2_420:                              ;   in Loop: Header=BB2_221 Depth=2
	s_wait_xcnt 0x0
	s_or_b32 exec_lo, exec_lo, s3
	s_delay_alu instid0(SALU_CYCLE_1) | instskip(SKIP_1) | instid1(SALU_CYCLE_1)
	s_and_not1_b32 s0, s0, exec_lo
	s_and_b32 s2, s2, exec_lo
	s_or_b32 s0, s0, s2
	s_or_b32 exec_lo, exec_lo, s1
	s_and_saveexec_b32 s1, s0
	s_cbranch_execnz .LBB2_325
	s_branch .LBB2_326
.LBB2_421:                              ;   in Loop: Header=BB2_221 Depth=2
	global_load_b64 v[0:1], v[0:1], off
	s_wait_xcnt 0x0
	s_and_saveexec_b32 s6, s0
	s_cbranch_execz .LBB2_425
; %bb.422:                              ;   in Loop: Header=BB2_221 Depth=2
	s_clause 0x2
	global_load_b64 v[2:3], v45, s[2:3] offset:40
	global_load_b64 v[10:11], v45, s[2:3] offset:24 scope:SCOPE_SYS
	global_load_b64 v[6:7], v45, s[2:3]
	s_wait_loadcnt 0x2
	v_readfirstlane_b32 s10, v2
	v_readfirstlane_b32 s11, v3
	s_add_nc_u64 s[0:1], s[10:11], 1
	s_delay_alu instid0(SALU_CYCLE_1) | instskip(NEXT) | instid1(SALU_CYCLE_1)
	s_add_nc_u64 s[4:5], s[0:1], s[4:5]
	s_cmp_eq_u64 s[4:5], 0
	s_cselect_b32 s1, s1, s5
	s_cselect_b32 s0, s0, s4
	s_delay_alu instid0(SALU_CYCLE_1) | instskip(SKIP_1) | instid1(SALU_CYCLE_1)
	v_dual_mov_b32 v9, s1 :: v_dual_mov_b32 v8, s0
	s_and_b64 s[4:5], s[0:1], s[10:11]
	s_mul_u64 s[4:5], s[4:5], 24
	s_wait_loadcnt 0x0
	v_add_nc_u64_e32 v[2:3], s[4:5], v[6:7]
	global_store_b64 v[2:3], v[10:11], off
	global_wb scope:SCOPE_SYS
	s_wait_storecnt 0x0
	s_wait_xcnt 0x0
	global_atomic_cmpswap_b64 v[8:9], v45, v[8:11], s[2:3] offset:24 th:TH_ATOMIC_RETURN scope:SCOPE_SYS
	s_wait_loadcnt 0x0
	v_cmp_ne_u64_e32 vcc_lo, v[8:9], v[10:11]
	s_and_b32 exec_lo, exec_lo, vcc_lo
	s_cbranch_execz .LBB2_425
; %bb.423:                              ;   in Loop: Header=BB2_221 Depth=2
	s_mov_b32 s4, 0
.LBB2_424:                              ;   Parent Loop BB2_13 Depth=1
                                        ;     Parent Loop BB2_221 Depth=2
                                        ; =>    This Inner Loop Header: Depth=3
	v_dual_mov_b32 v6, s0 :: v_dual_mov_b32 v7, s1
	s_sleep 1
	global_store_b64 v[2:3], v[8:9], off
	global_wb scope:SCOPE_SYS
	s_wait_storecnt 0x0
	s_wait_xcnt 0x0
	global_atomic_cmpswap_b64 v[6:7], v45, v[6:9], s[2:3] offset:24 th:TH_ATOMIC_RETURN scope:SCOPE_SYS
	s_wait_loadcnt 0x0
	v_cmp_eq_u64_e32 vcc_lo, v[6:7], v[8:9]
	v_mov_b64_e32 v[8:9], v[6:7]
	s_or_b32 s4, vcc_lo, s4
	s_delay_alu instid0(SALU_CYCLE_1)
	s_and_not1_b32 exec_lo, exec_lo, s4
	s_cbranch_execnz .LBB2_424
.LBB2_425:                              ;   in Loop: Header=BB2_221 Depth=2
	s_or_b32 exec_lo, exec_lo, s6
	s_delay_alu instid0(SALU_CYCLE_1)
	s_and_b32 vcc_lo, exec_lo, s63
	s_cbranch_vccz .LBB2_504
; %bb.426:                              ;   in Loop: Header=BB2_221 Depth=2
	s_wait_loadcnt 0x0
	v_dual_mov_b32 v7, v1 :: v_dual_bitop2_b32 v6, -3, v0 bitop3:0x40
	s_mov_b64 s[4:5], 53
	s_mov_b64 s[6:7], s[48:49]
	s_branch .LBB2_428
.LBB2_427:                              ;   in Loop: Header=BB2_428 Depth=3
	s_or_b32 exec_lo, exec_lo, s14
	s_sub_nc_u64 s[4:5], s[4:5], s[10:11]
	s_add_nc_u64 s[6:7], s[6:7], s[10:11]
	s_cmp_lg_u64 s[4:5], 0
	s_cbranch_scc0 .LBB2_503
.LBB2_428:                              ;   Parent Loop BB2_13 Depth=1
                                        ;     Parent Loop BB2_221 Depth=2
                                        ; =>    This Loop Header: Depth=3
                                        ;         Child Loop BB2_431 Depth 4
                                        ;         Child Loop BB2_438 Depth 4
	;; [unrolled: 1-line block ×11, first 2 shown]
	v_min_u64 v[2:3], s[4:5], 56
	v_cmp_gt_u64_e64 s0, s[4:5], 7
	s_and_b32 vcc_lo, exec_lo, s0
	v_readfirstlane_b32 s10, v2
	v_readfirstlane_b32 s11, v3
	s_cbranch_vccnz .LBB2_433
; %bb.429:                              ;   in Loop: Header=BB2_428 Depth=3
	s_wait_loadcnt 0x0
	v_mov_b64_e32 v[8:9], 0
	s_cmp_eq_u64 s[4:5], 0
	s_cbranch_scc1 .LBB2_432
; %bb.430:                              ;   in Loop: Header=BB2_428 Depth=3
	s_mov_b64 s[0:1], 0
	s_mov_b64 s[12:13], 0
.LBB2_431:                              ;   Parent Loop BB2_13 Depth=1
                                        ;     Parent Loop BB2_221 Depth=2
                                        ;       Parent Loop BB2_428 Depth=3
                                        ; =>      This Inner Loop Header: Depth=4
	s_wait_xcnt 0x0
	s_add_nc_u64 s[14:15], s[6:7], s[12:13]
	s_add_nc_u64 s[12:13], s[12:13], 1
	global_load_u8 v2, v45, s[14:15]
	s_cmp_lg_u32 s10, s12
	s_wait_loadcnt 0x0
	v_and_b32_e32 v44, 0xffff, v2
	s_delay_alu instid0(VALU_DEP_1) | instskip(SKIP_1) | instid1(VALU_DEP_1)
	v_lshlrev_b64_e32 v[2:3], s0, v[44:45]
	s_add_nc_u64 s[0:1], s[0:1], 8
	v_or_b32_e32 v8, v2, v8
	s_delay_alu instid0(VALU_DEP_2)
	v_or_b32_e32 v9, v3, v9
	s_cbranch_scc1 .LBB2_431
.LBB2_432:                              ;   in Loop: Header=BB2_428 Depth=3
	s_mov_b64 s[0:1], s[6:7]
	s_mov_b32 s20, 0
	s_cbranch_execz .LBB2_434
	s_branch .LBB2_435
.LBB2_433:                              ;   in Loop: Header=BB2_428 Depth=3
	s_add_nc_u64 s[0:1], s[6:7], 8
	s_mov_b32 s20, 0
.LBB2_434:                              ;   in Loop: Header=BB2_428 Depth=3
	s_wait_loadcnt 0x0
	global_load_b64 v[8:9], v45, s[6:7]
	s_add_co_i32 s20, s10, -8
.LBB2_435:                              ;   in Loop: Header=BB2_428 Depth=3
	s_delay_alu instid0(SALU_CYCLE_1)
	s_cmp_gt_u32 s20, 7
	s_cbranch_scc1 .LBB2_440
; %bb.436:                              ;   in Loop: Header=BB2_428 Depth=3
	v_mov_b64_e32 v[10:11], 0
	s_cmp_eq_u32 s20, 0
	s_cbranch_scc1 .LBB2_439
; %bb.437:                              ;   in Loop: Header=BB2_428 Depth=3
	s_mov_b64 s[12:13], 0
	s_wait_xcnt 0x0
	s_mov_b64 s[14:15], 0
.LBB2_438:                              ;   Parent Loop BB2_13 Depth=1
                                        ;     Parent Loop BB2_221 Depth=2
                                        ;       Parent Loop BB2_428 Depth=3
                                        ; =>      This Inner Loop Header: Depth=4
	s_wait_xcnt 0x0
	s_add_nc_u64 s[22:23], s[0:1], s[14:15]
	s_add_nc_u64 s[14:15], s[14:15], 1
	global_load_u8 v2, v45, s[22:23]
	s_cmp_lg_u32 s20, s14
	s_wait_loadcnt 0x0
	v_and_b32_e32 v44, 0xffff, v2
	s_delay_alu instid0(VALU_DEP_1) | instskip(SKIP_1) | instid1(VALU_DEP_1)
	v_lshlrev_b64_e32 v[2:3], s12, v[44:45]
	s_add_nc_u64 s[12:13], s[12:13], 8
	v_or_b32_e32 v10, v2, v10
	s_delay_alu instid0(VALU_DEP_2)
	v_or_b32_e32 v11, v3, v11
	s_cbranch_scc1 .LBB2_438
.LBB2_439:                              ;   in Loop: Header=BB2_428 Depth=3
	s_wait_xcnt 0x0
	s_mov_b64 s[12:13], s[0:1]
	s_mov_b32 s21, 0
	s_cbranch_execz .LBB2_441
	s_branch .LBB2_442
.LBB2_440:                              ;   in Loop: Header=BB2_428 Depth=3
	s_add_nc_u64 s[12:13], s[0:1], 8
	s_wait_xcnt 0x0
                                        ; implicit-def: $vgpr10_vgpr11
	s_mov_b32 s21, 0
.LBB2_441:                              ;   in Loop: Header=BB2_428 Depth=3
	global_load_b64 v[10:11], v45, s[0:1]
	s_add_co_i32 s21, s20, -8
.LBB2_442:                              ;   in Loop: Header=BB2_428 Depth=3
	s_delay_alu instid0(SALU_CYCLE_1)
	s_cmp_gt_u32 s21, 7
	s_cbranch_scc1 .LBB2_447
; %bb.443:                              ;   in Loop: Header=BB2_428 Depth=3
	v_mov_b64_e32 v[12:13], 0
	s_cmp_eq_u32 s21, 0
	s_cbranch_scc1 .LBB2_446
; %bb.444:                              ;   in Loop: Header=BB2_428 Depth=3
	s_wait_xcnt 0x0
	s_mov_b64 s[0:1], 0
	s_mov_b64 s[14:15], 0
.LBB2_445:                              ;   Parent Loop BB2_13 Depth=1
                                        ;     Parent Loop BB2_221 Depth=2
                                        ;       Parent Loop BB2_428 Depth=3
                                        ; =>      This Inner Loop Header: Depth=4
	s_wait_xcnt 0x0
	s_add_nc_u64 s[22:23], s[12:13], s[14:15]
	s_add_nc_u64 s[14:15], s[14:15], 1
	global_load_u8 v2, v45, s[22:23]
	s_cmp_lg_u32 s21, s14
	s_wait_loadcnt 0x0
	v_and_b32_e32 v44, 0xffff, v2
	s_delay_alu instid0(VALU_DEP_1) | instskip(SKIP_1) | instid1(VALU_DEP_1)
	v_lshlrev_b64_e32 v[2:3], s0, v[44:45]
	s_add_nc_u64 s[0:1], s[0:1], 8
	v_or_b32_e32 v12, v2, v12
	s_delay_alu instid0(VALU_DEP_2)
	v_or_b32_e32 v13, v3, v13
	s_cbranch_scc1 .LBB2_445
.LBB2_446:                              ;   in Loop: Header=BB2_428 Depth=3
	s_wait_xcnt 0x0
	s_mov_b64 s[0:1], s[12:13]
	s_mov_b32 s20, 0
	s_cbranch_execz .LBB2_448
	s_branch .LBB2_449
.LBB2_447:                              ;   in Loop: Header=BB2_428 Depth=3
	s_wait_xcnt 0x0
	s_add_nc_u64 s[0:1], s[12:13], 8
	s_mov_b32 s20, 0
.LBB2_448:                              ;   in Loop: Header=BB2_428 Depth=3
	global_load_b64 v[12:13], v45, s[12:13]
	s_add_co_i32 s20, s21, -8
.LBB2_449:                              ;   in Loop: Header=BB2_428 Depth=3
	s_delay_alu instid0(SALU_CYCLE_1)
	s_cmp_gt_u32 s20, 7
	s_cbranch_scc1 .LBB2_454
; %bb.450:                              ;   in Loop: Header=BB2_428 Depth=3
	v_mov_b64_e32 v[14:15], 0
	s_cmp_eq_u32 s20, 0
	s_cbranch_scc1 .LBB2_453
; %bb.451:                              ;   in Loop: Header=BB2_428 Depth=3
	s_wait_xcnt 0x0
	s_mov_b64 s[12:13], 0
	s_mov_b64 s[14:15], 0
.LBB2_452:                              ;   Parent Loop BB2_13 Depth=1
                                        ;     Parent Loop BB2_221 Depth=2
                                        ;       Parent Loop BB2_428 Depth=3
                                        ; =>      This Inner Loop Header: Depth=4
	s_wait_xcnt 0x0
	s_add_nc_u64 s[22:23], s[0:1], s[14:15]
	s_add_nc_u64 s[14:15], s[14:15], 1
	global_load_u8 v2, v45, s[22:23]
	s_cmp_lg_u32 s20, s14
	s_wait_loadcnt 0x0
	v_and_b32_e32 v44, 0xffff, v2
	s_delay_alu instid0(VALU_DEP_1) | instskip(SKIP_1) | instid1(VALU_DEP_1)
	v_lshlrev_b64_e32 v[2:3], s12, v[44:45]
	s_add_nc_u64 s[12:13], s[12:13], 8
	v_or_b32_e32 v14, v2, v14
	s_delay_alu instid0(VALU_DEP_2)
	v_or_b32_e32 v15, v3, v15
	s_cbranch_scc1 .LBB2_452
.LBB2_453:                              ;   in Loop: Header=BB2_428 Depth=3
	s_wait_xcnt 0x0
	s_mov_b64 s[12:13], s[0:1]
	s_mov_b32 s21, 0
	s_cbranch_execz .LBB2_455
	s_branch .LBB2_456
.LBB2_454:                              ;   in Loop: Header=BB2_428 Depth=3
	s_wait_xcnt 0x0
	s_add_nc_u64 s[12:13], s[0:1], 8
                                        ; implicit-def: $vgpr14_vgpr15
	s_mov_b32 s21, 0
.LBB2_455:                              ;   in Loop: Header=BB2_428 Depth=3
	global_load_b64 v[14:15], v45, s[0:1]
	s_add_co_i32 s21, s20, -8
.LBB2_456:                              ;   in Loop: Header=BB2_428 Depth=3
	s_delay_alu instid0(SALU_CYCLE_1)
	s_cmp_gt_u32 s21, 7
	s_cbranch_scc1 .LBB2_461
; %bb.457:                              ;   in Loop: Header=BB2_428 Depth=3
	v_mov_b64_e32 v[16:17], 0
	s_cmp_eq_u32 s21, 0
	s_cbranch_scc1 .LBB2_460
; %bb.458:                              ;   in Loop: Header=BB2_428 Depth=3
	s_wait_xcnt 0x0
	s_mov_b64 s[0:1], 0
	s_mov_b64 s[14:15], 0
.LBB2_459:                              ;   Parent Loop BB2_13 Depth=1
                                        ;     Parent Loop BB2_221 Depth=2
                                        ;       Parent Loop BB2_428 Depth=3
                                        ; =>      This Inner Loop Header: Depth=4
	s_wait_xcnt 0x0
	s_add_nc_u64 s[22:23], s[12:13], s[14:15]
	s_add_nc_u64 s[14:15], s[14:15], 1
	global_load_u8 v2, v45, s[22:23]
	s_cmp_lg_u32 s21, s14
	s_wait_loadcnt 0x0
	v_and_b32_e32 v44, 0xffff, v2
	s_delay_alu instid0(VALU_DEP_1) | instskip(SKIP_1) | instid1(VALU_DEP_1)
	v_lshlrev_b64_e32 v[2:3], s0, v[44:45]
	s_add_nc_u64 s[0:1], s[0:1], 8
	v_or_b32_e32 v16, v2, v16
	s_delay_alu instid0(VALU_DEP_2)
	v_or_b32_e32 v17, v3, v17
	s_cbranch_scc1 .LBB2_459
.LBB2_460:                              ;   in Loop: Header=BB2_428 Depth=3
	s_wait_xcnt 0x0
	s_mov_b64 s[0:1], s[12:13]
	s_mov_b32 s20, 0
	s_cbranch_execz .LBB2_462
	s_branch .LBB2_463
.LBB2_461:                              ;   in Loop: Header=BB2_428 Depth=3
	s_wait_xcnt 0x0
	s_add_nc_u64 s[0:1], s[12:13], 8
	s_mov_b32 s20, 0
.LBB2_462:                              ;   in Loop: Header=BB2_428 Depth=3
	global_load_b64 v[16:17], v45, s[12:13]
	s_add_co_i32 s20, s21, -8
.LBB2_463:                              ;   in Loop: Header=BB2_428 Depth=3
	s_delay_alu instid0(SALU_CYCLE_1)
	s_cmp_gt_u32 s20, 7
	s_cbranch_scc1 .LBB2_468
; %bb.464:                              ;   in Loop: Header=BB2_428 Depth=3
	v_mov_b64_e32 v[18:19], 0
	s_cmp_eq_u32 s20, 0
	s_cbranch_scc1 .LBB2_467
; %bb.465:                              ;   in Loop: Header=BB2_428 Depth=3
	s_wait_xcnt 0x0
	s_mov_b64 s[12:13], 0
	s_mov_b64 s[14:15], 0
.LBB2_466:                              ;   Parent Loop BB2_13 Depth=1
                                        ;     Parent Loop BB2_221 Depth=2
                                        ;       Parent Loop BB2_428 Depth=3
                                        ; =>      This Inner Loop Header: Depth=4
	s_wait_xcnt 0x0
	s_add_nc_u64 s[22:23], s[0:1], s[14:15]
	s_add_nc_u64 s[14:15], s[14:15], 1
	global_load_u8 v2, v45, s[22:23]
	s_cmp_lg_u32 s20, s14
	s_wait_loadcnt 0x0
	v_and_b32_e32 v44, 0xffff, v2
	s_delay_alu instid0(VALU_DEP_1) | instskip(SKIP_1) | instid1(VALU_DEP_1)
	v_lshlrev_b64_e32 v[2:3], s12, v[44:45]
	s_add_nc_u64 s[12:13], s[12:13], 8
	v_or_b32_e32 v18, v2, v18
	s_delay_alu instid0(VALU_DEP_2)
	v_or_b32_e32 v19, v3, v19
	s_cbranch_scc1 .LBB2_466
.LBB2_467:                              ;   in Loop: Header=BB2_428 Depth=3
	s_wait_xcnt 0x0
	s_mov_b64 s[12:13], s[0:1]
	s_mov_b32 s21, 0
	s_cbranch_execz .LBB2_469
	s_branch .LBB2_470
.LBB2_468:                              ;   in Loop: Header=BB2_428 Depth=3
	s_wait_xcnt 0x0
	s_add_nc_u64 s[12:13], s[0:1], 8
                                        ; implicit-def: $vgpr18_vgpr19
	s_mov_b32 s21, 0
.LBB2_469:                              ;   in Loop: Header=BB2_428 Depth=3
	global_load_b64 v[18:19], v45, s[0:1]
	s_add_co_i32 s21, s20, -8
.LBB2_470:                              ;   in Loop: Header=BB2_428 Depth=3
	s_delay_alu instid0(SALU_CYCLE_1)
	s_cmp_gt_u32 s21, 7
	s_cbranch_scc1 .LBB2_475
; %bb.471:                              ;   in Loop: Header=BB2_428 Depth=3
	v_mov_b64_e32 v[20:21], 0
	s_cmp_eq_u32 s21, 0
	s_cbranch_scc1 .LBB2_474
; %bb.472:                              ;   in Loop: Header=BB2_428 Depth=3
	s_wait_xcnt 0x0
	s_mov_b64 s[0:1], 0
	s_mov_b64 s[14:15], s[12:13]
.LBB2_473:                              ;   Parent Loop BB2_13 Depth=1
                                        ;     Parent Loop BB2_221 Depth=2
                                        ;       Parent Loop BB2_428 Depth=3
                                        ; =>      This Inner Loop Header: Depth=4
	global_load_u8 v2, v45, s[14:15]
	s_add_co_i32 s21, s21, -1
	s_wait_xcnt 0x0
	s_add_nc_u64 s[14:15], s[14:15], 1
	s_cmp_lg_u32 s21, 0
	s_wait_loadcnt 0x0
	v_and_b32_e32 v44, 0xffff, v2
	s_delay_alu instid0(VALU_DEP_1) | instskip(SKIP_1) | instid1(VALU_DEP_1)
	v_lshlrev_b64_e32 v[2:3], s0, v[44:45]
	s_add_nc_u64 s[0:1], s[0:1], 8
	v_or_b32_e32 v20, v2, v20
	s_delay_alu instid0(VALU_DEP_2)
	v_or_b32_e32 v21, v3, v21
	s_cbranch_scc1 .LBB2_473
.LBB2_474:                              ;   in Loop: Header=BB2_428 Depth=3
	s_wait_xcnt 0x0
	s_cbranch_execz .LBB2_476
	s_branch .LBB2_477
.LBB2_475:                              ;   in Loop: Header=BB2_428 Depth=3
	s_wait_xcnt 0x0
.LBB2_476:                              ;   in Loop: Header=BB2_428 Depth=3
	global_load_b64 v[20:21], v45, s[12:13]
.LBB2_477:                              ;   in Loop: Header=BB2_428 Depth=3
	v_readfirstlane_b32 s0, v100
	v_mov_b64_e32 v[2:3], 0
	s_delay_alu instid0(VALU_DEP_2)
	v_cmp_eq_u32_e64 s0, s0, v100
	s_wait_xcnt 0x0
	s_and_saveexec_b32 s1, s0
	s_cbranch_execz .LBB2_483
; %bb.478:                              ;   in Loop: Header=BB2_428 Depth=3
	global_load_b64 v[24:25], v45, s[2:3] offset:24 scope:SCOPE_SYS
	s_wait_loadcnt 0x0
	global_inv scope:SCOPE_SYS
	s_clause 0x1
	global_load_b64 v[2:3], v45, s[2:3] offset:40
	global_load_b64 v[22:23], v45, s[2:3]
	s_mov_b32 s12, exec_lo
	s_wait_loadcnt 0x1
	v_and_b32_e32 v2, v2, v24
	v_and_b32_e32 v3, v3, v25
	s_delay_alu instid0(VALU_DEP_1) | instskip(SKIP_1) | instid1(VALU_DEP_1)
	v_mul_u64_e32 v[2:3], 24, v[2:3]
	s_wait_loadcnt 0x0
	v_add_nc_u64_e32 v[2:3], v[22:23], v[2:3]
	global_load_b64 v[22:23], v[2:3], off scope:SCOPE_SYS
	s_wait_xcnt 0x0
	s_wait_loadcnt 0x0
	global_atomic_cmpswap_b64 v[2:3], v45, v[22:25], s[2:3] offset:24 th:TH_ATOMIC_RETURN scope:SCOPE_SYS
	s_wait_loadcnt 0x0
	global_inv scope:SCOPE_SYS
	s_wait_xcnt 0x0
	v_cmpx_ne_u64_e64 v[2:3], v[24:25]
	s_cbranch_execz .LBB2_482
; %bb.479:                              ;   in Loop: Header=BB2_428 Depth=3
	s_mov_b32 s13, 0
.LBB2_480:                              ;   Parent Loop BB2_13 Depth=1
                                        ;     Parent Loop BB2_221 Depth=2
                                        ;       Parent Loop BB2_428 Depth=3
                                        ; =>      This Inner Loop Header: Depth=4
	s_sleep 1
	s_clause 0x1
	global_load_b64 v[22:23], v45, s[2:3] offset:40
	global_load_b64 v[30:31], v45, s[2:3]
	v_mov_b64_e32 v[24:25], v[2:3]
	s_wait_loadcnt 0x1
	s_delay_alu instid0(VALU_DEP_1) | instskip(NEXT) | instid1(VALU_DEP_2)
	v_and_b32_e32 v2, v22, v24
	v_and_b32_e32 v22, v23, v25
	s_wait_loadcnt 0x0
	s_delay_alu instid0(VALU_DEP_2) | instskip(NEXT) | instid1(VALU_DEP_1)
	v_mad_nc_u64_u32 v[2:3], v2, 24, v[30:31]
	v_mad_u32 v3, v22, 24, v3
	global_load_b64 v[22:23], v[2:3], off scope:SCOPE_SYS
	s_wait_xcnt 0x0
	s_wait_loadcnt 0x0
	global_atomic_cmpswap_b64 v[2:3], v45, v[22:25], s[2:3] offset:24 th:TH_ATOMIC_RETURN scope:SCOPE_SYS
	s_wait_loadcnt 0x0
	global_inv scope:SCOPE_SYS
	v_cmp_eq_u64_e32 vcc_lo, v[2:3], v[24:25]
	s_or_b32 s13, vcc_lo, s13
	s_wait_xcnt 0x0
	s_and_not1_b32 exec_lo, exec_lo, s13
	s_cbranch_execnz .LBB2_480
; %bb.481:                              ;   in Loop: Header=BB2_428 Depth=3
	s_or_b32 exec_lo, exec_lo, s13
.LBB2_482:                              ;   in Loop: Header=BB2_428 Depth=3
	s_delay_alu instid0(SALU_CYCLE_1)
	s_or_b32 exec_lo, exec_lo, s12
.LBB2_483:                              ;   in Loop: Header=BB2_428 Depth=3
	s_delay_alu instid0(SALU_CYCLE_1)
	s_or_b32 exec_lo, exec_lo, s1
	s_clause 0x1
	global_load_b64 v[30:31], v45, s[2:3] offset:40
	global_load_b128 v[22:25], v45, s[2:3]
	v_readfirstlane_b32 s12, v2
	v_readfirstlane_b32 s13, v3
	s_mov_b32 s1, exec_lo
	s_wait_loadcnt 0x1
	v_and_b32_e32 v30, s12, v30
	v_and_b32_e32 v31, s13, v31
	s_delay_alu instid0(VALU_DEP_1) | instskip(SKIP_1) | instid1(VALU_DEP_1)
	v_mul_u64_e32 v[2:3], 24, v[30:31]
	s_wait_loadcnt 0x0
	v_add_nc_u64_e32 v[2:3], v[22:23], v[2:3]
	s_wait_xcnt 0x0
	s_and_saveexec_b32 s14, s0
	s_cbranch_execz .LBB2_485
; %bb.484:                              ;   in Loop: Header=BB2_428 Depth=3
	v_mov_b32_e32 v44, s1
	global_store_b128 v[2:3], v[44:47], off offset:8
.LBB2_485:                              ;   in Loop: Header=BB2_428 Depth=3
	s_wait_xcnt 0x0
	s_or_b32 exec_lo, exec_lo, s14
	v_cmp_gt_u64_e64 s1, s[4:5], 56
	v_lshlrev_b64_e32 v[30:31], 12, v[30:31]
	v_and_b32_e32 v6, 0xffffff1f, v6
	s_and_b32 s1, s1, exec_lo
	s_delay_alu instid0(VALU_DEP_2) | instskip(SKIP_4) | instid1(VALU_DEP_2)
	v_add_nc_u64_e32 v[24:25], v[24:25], v[30:31]
	s_cselect_b32 s1, 0, 2
	s_lshl_b32 s14, s10, 2
	v_or_b32_e32 v6, s1, v6
	s_add_co_i32 s1, s14, 28
	v_readfirstlane_b32 s14, v24
	s_delay_alu instid0(VALU_DEP_3) | instskip(NEXT) | instid1(VALU_DEP_3)
	v_readfirstlane_b32 s15, v25
	v_and_or_b32 v6, 0x1e0, s1, v6
	s_clause 0x3
	global_store_b128 v28, v[6:9], s[14:15]
	global_store_b128 v28, v[10:13], s[14:15] offset:16
	global_store_b128 v28, v[14:17], s[14:15] offset:32
	;; [unrolled: 1-line block ×3, first 2 shown]
	s_wait_xcnt 0x0
	s_and_saveexec_b32 s1, s0
	s_cbranch_execz .LBB2_493
; %bb.486:                              ;   in Loop: Header=BB2_428 Depth=3
	s_clause 0x1
	global_load_b64 v[14:15], v45, s[2:3] offset:32 scope:SCOPE_SYS
	global_load_b64 v[6:7], v45, s[2:3] offset:40
	s_mov_b32 s14, exec_lo
	v_dual_mov_b32 v12, s12 :: v_dual_mov_b32 v13, s13
	s_wait_loadcnt 0x0
	v_and_b32_e32 v7, s13, v7
	v_and_b32_e32 v6, s12, v6
	s_delay_alu instid0(VALU_DEP_1) | instskip(NEXT) | instid1(VALU_DEP_1)
	v_mul_u64_e32 v[6:7], 24, v[6:7]
	v_add_nc_u64_e32 v[10:11], v[22:23], v[6:7]
	global_store_b64 v[10:11], v[14:15], off
	global_wb scope:SCOPE_SYS
	s_wait_storecnt 0x0
	s_wait_xcnt 0x0
	global_atomic_cmpswap_b64 v[8:9], v45, v[12:15], s[2:3] offset:32 th:TH_ATOMIC_RETURN scope:SCOPE_SYS
	s_wait_loadcnt 0x0
	v_cmpx_ne_u64_e64 v[8:9], v[14:15]
	s_cbranch_execz .LBB2_489
; %bb.487:                              ;   in Loop: Header=BB2_428 Depth=3
	s_mov_b32 s15, 0
.LBB2_488:                              ;   Parent Loop BB2_13 Depth=1
                                        ;     Parent Loop BB2_221 Depth=2
                                        ;       Parent Loop BB2_428 Depth=3
                                        ; =>      This Inner Loop Header: Depth=4
	v_dual_mov_b32 v6, s12 :: v_dual_mov_b32 v7, s13
	s_sleep 1
	global_store_b64 v[10:11], v[8:9], off
	global_wb scope:SCOPE_SYS
	s_wait_storecnt 0x0
	s_wait_xcnt 0x0
	global_atomic_cmpswap_b64 v[6:7], v45, v[6:9], s[2:3] offset:32 th:TH_ATOMIC_RETURN scope:SCOPE_SYS
	s_wait_loadcnt 0x0
	v_cmp_eq_u64_e32 vcc_lo, v[6:7], v[8:9]
	v_mov_b64_e32 v[8:9], v[6:7]
	s_or_b32 s15, vcc_lo, s15
	s_delay_alu instid0(SALU_CYCLE_1)
	s_and_not1_b32 exec_lo, exec_lo, s15
	s_cbranch_execnz .LBB2_488
.LBB2_489:                              ;   in Loop: Header=BB2_428 Depth=3
	s_or_b32 exec_lo, exec_lo, s14
	global_load_b64 v[6:7], v45, s[2:3] offset:16
	s_mov_b32 s15, exec_lo
	s_mov_b32 s14, exec_lo
	v_mbcnt_lo_u32_b32 v8, s15, 0
	s_wait_xcnt 0x0
	s_delay_alu instid0(VALU_DEP_1)
	v_cmpx_eq_u32_e32 0, v8
	s_cbranch_execz .LBB2_491
; %bb.490:                              ;   in Loop: Header=BB2_428 Depth=3
	s_bcnt1_i32_b32 s15, s15
	s_delay_alu instid0(SALU_CYCLE_1)
	v_mov_b32_e32 v44, s15
	global_wb scope:SCOPE_SYS
	s_wait_loadcnt 0x0
	s_wait_storecnt 0x0
	global_atomic_add_u64 v[6:7], v[44:45], off offset:8 scope:SCOPE_SYS
.LBB2_491:                              ;   in Loop: Header=BB2_428 Depth=3
	s_wait_xcnt 0x0
	s_or_b32 exec_lo, exec_lo, s14
	s_wait_loadcnt 0x0
	global_load_b64 v[8:9], v[6:7], off offset:16
	s_wait_loadcnt 0x0
	v_cmp_eq_u64_e32 vcc_lo, 0, v[8:9]
	s_cbranch_vccnz .LBB2_493
; %bb.492:                              ;   in Loop: Header=BB2_428 Depth=3
	global_load_b32 v44, v[6:7], off offset:24
	s_wait_loadcnt 0x0
	v_readfirstlane_b32 s14, v44
	global_wb scope:SCOPE_SYS
	s_wait_storecnt 0x0
	s_wait_xcnt 0x0
	global_store_b64 v[8:9], v[44:45], off scope:SCOPE_SYS
	s_and_b32 m0, s14, 0xffffff
	s_sendmsg sendmsg(MSG_INTERRUPT)
.LBB2_493:                              ;   in Loop: Header=BB2_428 Depth=3
	s_wait_xcnt 0x0
	s_or_b32 exec_lo, exec_lo, s1
	v_mov_b32_e32 v29, v45
	s_delay_alu instid0(VALU_DEP_1)
	v_add_nc_u64_e32 v[6:7], v[24:25], v[28:29]
	s_branch .LBB2_497
.LBB2_494:                              ;   in Loop: Header=BB2_497 Depth=4
	s_wait_xcnt 0x0
	s_or_b32 exec_lo, exec_lo, s1
	s_delay_alu instid0(VALU_DEP_1)
	v_readfirstlane_b32 s1, v8
	s_cmp_eq_u32 s1, 0
	s_cbranch_scc1 .LBB2_496
; %bb.495:                              ;   in Loop: Header=BB2_497 Depth=4
	s_sleep 1
	s_cbranch_execnz .LBB2_497
	s_branch .LBB2_499
.LBB2_496:                              ;   in Loop: Header=BB2_428 Depth=3
	s_branch .LBB2_499
.LBB2_497:                              ;   Parent Loop BB2_13 Depth=1
                                        ;     Parent Loop BB2_221 Depth=2
                                        ;       Parent Loop BB2_428 Depth=3
                                        ; =>      This Inner Loop Header: Depth=4
	v_mov_b32_e32 v8, 1
	s_and_saveexec_b32 s1, s0
	s_cbranch_execz .LBB2_494
; %bb.498:                              ;   in Loop: Header=BB2_497 Depth=4
	global_load_b32 v8, v[2:3], off offset:20 scope:SCOPE_SYS
	s_wait_loadcnt 0x0
	global_inv scope:SCOPE_SYS
	v_and_b32_e32 v8, 1, v8
	s_branch .LBB2_494
.LBB2_499:                              ;   in Loop: Header=BB2_428 Depth=3
	global_load_b128 v[6:9], v[6:7], off
	s_wait_xcnt 0x0
	s_and_saveexec_b32 s14, s0
	s_cbranch_execz .LBB2_427
; %bb.500:                              ;   in Loop: Header=BB2_428 Depth=3
	s_clause 0x1
	global_load_b64 v[2:3], v45, s[2:3] offset:40
	global_load_b64 v[12:13], v45, s[2:3] offset:24 scope:SCOPE_SYS
	s_wait_loadcnt 0x2
	global_load_b64 v[8:9], v45, s[2:3]
	s_wait_loadcnt 0x2
	v_readfirstlane_b32 s20, v2
	v_readfirstlane_b32 s21, v3
	s_add_nc_u64 s[0:1], s[20:21], 1
	s_delay_alu instid0(SALU_CYCLE_1) | instskip(NEXT) | instid1(SALU_CYCLE_1)
	s_add_nc_u64 s[12:13], s[0:1], s[12:13]
	s_cmp_eq_u64 s[12:13], 0
	s_cselect_b32 s1, s1, s13
	s_cselect_b32 s0, s0, s12
	s_delay_alu instid0(SALU_CYCLE_1) | instskip(SKIP_1) | instid1(SALU_CYCLE_1)
	v_dual_mov_b32 v11, s1 :: v_dual_mov_b32 v10, s0
	s_and_b64 s[12:13], s[0:1], s[20:21]
	s_mul_u64 s[12:13], s[12:13], 24
	s_wait_loadcnt 0x0
	v_add_nc_u64_e32 v[2:3], s[12:13], v[8:9]
	global_store_b64 v[2:3], v[12:13], off
	global_wb scope:SCOPE_SYS
	s_wait_storecnt 0x0
	s_wait_xcnt 0x0
	global_atomic_cmpswap_b64 v[10:11], v45, v[10:13], s[2:3] offset:24 th:TH_ATOMIC_RETURN scope:SCOPE_SYS
	s_wait_loadcnt 0x0
	v_cmp_ne_u64_e32 vcc_lo, v[10:11], v[12:13]
	s_and_b32 exec_lo, exec_lo, vcc_lo
	s_cbranch_execz .LBB2_427
; %bb.501:                              ;   in Loop: Header=BB2_428 Depth=3
	s_mov_b32 s12, 0
.LBB2_502:                              ;   Parent Loop BB2_13 Depth=1
                                        ;     Parent Loop BB2_221 Depth=2
                                        ;       Parent Loop BB2_428 Depth=3
                                        ; =>      This Inner Loop Header: Depth=4
	v_dual_mov_b32 v8, s0 :: v_dual_mov_b32 v9, s1
	s_sleep 1
	global_store_b64 v[2:3], v[10:11], off
	global_wb scope:SCOPE_SYS
	s_wait_storecnt 0x0
	s_wait_xcnt 0x0
	global_atomic_cmpswap_b64 v[8:9], v45, v[8:11], s[2:3] offset:24 th:TH_ATOMIC_RETURN scope:SCOPE_SYS
	s_wait_loadcnt 0x0
	v_cmp_eq_u64_e32 vcc_lo, v[8:9], v[10:11]
	v_mov_b64_e32 v[10:11], v[8:9]
	s_or_b32 s12, vcc_lo, s12
	s_delay_alu instid0(SALU_CYCLE_1)
	s_and_not1_b32 exec_lo, exec_lo, s12
	s_cbranch_execnz .LBB2_502
	s_branch .LBB2_427
.LBB2_503:                              ;   in Loop: Header=BB2_221 Depth=2
	s_branch .LBB2_531
.LBB2_504:                              ;   in Loop: Header=BB2_221 Depth=2
	s_cbranch_execz .LBB2_531
; %bb.505:                              ;   in Loop: Header=BB2_221 Depth=2
	v_readfirstlane_b32 s0, v100
	v_mov_b64_e32 v[2:3], 0
	s_delay_alu instid0(VALU_DEP_2)
	v_cmp_eq_u32_e64 s0, s0, v100
	s_and_saveexec_b32 s1, s0
	s_cbranch_execz .LBB2_511
; %bb.506:                              ;   in Loop: Header=BB2_221 Depth=2
	s_wait_loadcnt 0x0
	global_load_b64 v[8:9], v45, s[2:3] offset:24 scope:SCOPE_SYS
	s_wait_loadcnt 0x0
	global_inv scope:SCOPE_SYS
	s_clause 0x1
	global_load_b64 v[2:3], v45, s[2:3] offset:40
	global_load_b64 v[6:7], v45, s[2:3]
	s_mov_b32 s4, exec_lo
	s_wait_loadcnt 0x1
	v_and_b32_e32 v2, v2, v8
	v_and_b32_e32 v3, v3, v9
	s_delay_alu instid0(VALU_DEP_1) | instskip(SKIP_1) | instid1(VALU_DEP_1)
	v_mul_u64_e32 v[2:3], 24, v[2:3]
	s_wait_loadcnt 0x0
	v_add_nc_u64_e32 v[2:3], v[6:7], v[2:3]
	global_load_b64 v[6:7], v[2:3], off scope:SCOPE_SYS
	s_wait_xcnt 0x0
	s_wait_loadcnt 0x0
	global_atomic_cmpswap_b64 v[2:3], v45, v[6:9], s[2:3] offset:24 th:TH_ATOMIC_RETURN scope:SCOPE_SYS
	s_wait_loadcnt 0x0
	global_inv scope:SCOPE_SYS
	s_wait_xcnt 0x0
	v_cmpx_ne_u64_e64 v[2:3], v[8:9]
	s_cbranch_execz .LBB2_510
; %bb.507:                              ;   in Loop: Header=BB2_221 Depth=2
	s_mov_b32 s5, 0
.LBB2_508:                              ;   Parent Loop BB2_13 Depth=1
                                        ;     Parent Loop BB2_221 Depth=2
                                        ; =>    This Inner Loop Header: Depth=3
	s_sleep 1
	s_clause 0x1
	global_load_b64 v[6:7], v45, s[2:3] offset:40
	global_load_b64 v[10:11], v45, s[2:3]
	v_mov_b64_e32 v[8:9], v[2:3]
	s_wait_loadcnt 0x1
	s_delay_alu instid0(VALU_DEP_1) | instskip(NEXT) | instid1(VALU_DEP_2)
	v_and_b32_e32 v2, v6, v8
	v_and_b32_e32 v6, v7, v9
	s_wait_loadcnt 0x0
	s_delay_alu instid0(VALU_DEP_2) | instskip(NEXT) | instid1(VALU_DEP_1)
	v_mad_nc_u64_u32 v[2:3], v2, 24, v[10:11]
	v_mad_u32 v3, v6, 24, v3
	global_load_b64 v[6:7], v[2:3], off scope:SCOPE_SYS
	s_wait_xcnt 0x0
	s_wait_loadcnt 0x0
	global_atomic_cmpswap_b64 v[2:3], v45, v[6:9], s[2:3] offset:24 th:TH_ATOMIC_RETURN scope:SCOPE_SYS
	s_wait_loadcnt 0x0
	global_inv scope:SCOPE_SYS
	v_cmp_eq_u64_e32 vcc_lo, v[2:3], v[8:9]
	s_or_b32 s5, vcc_lo, s5
	s_wait_xcnt 0x0
	s_and_not1_b32 exec_lo, exec_lo, s5
	s_cbranch_execnz .LBB2_508
; %bb.509:                              ;   in Loop: Header=BB2_221 Depth=2
	s_or_b32 exec_lo, exec_lo, s5
.LBB2_510:                              ;   in Loop: Header=BB2_221 Depth=2
	s_delay_alu instid0(SALU_CYCLE_1)
	s_or_b32 exec_lo, exec_lo, s4
.LBB2_511:                              ;   in Loop: Header=BB2_221 Depth=2
	s_delay_alu instid0(SALU_CYCLE_1)
	s_or_b32 exec_lo, exec_lo, s1
	global_load_b64 v[10:11], v45, s[2:3] offset:40
	s_wait_loadcnt 0x1
	global_load_b128 v[6:9], v45, s[2:3]
	v_readfirstlane_b32 s4, v2
	v_readfirstlane_b32 s5, v3
	s_mov_b32 s1, exec_lo
	s_wait_loadcnt 0x1
	v_and_b32_e32 v2, s4, v10
	v_and_b32_e32 v3, s5, v11
	s_delay_alu instid0(VALU_DEP_1) | instskip(SKIP_1) | instid1(VALU_DEP_1)
	v_mul_u64_e32 v[10:11], 24, v[2:3]
	s_wait_loadcnt 0x0
	v_add_nc_u64_e32 v[10:11], v[6:7], v[10:11]
	s_wait_xcnt 0x0
	s_and_saveexec_b32 s6, s0
	s_cbranch_execz .LBB2_513
; %bb.512:                              ;   in Loop: Header=BB2_221 Depth=2
	v_mov_b32_e32 v44, s1
	global_store_b128 v[10:11], v[44:47], off offset:8
.LBB2_513:                              ;   in Loop: Header=BB2_221 Depth=2
	s_wait_xcnt 0x0
	s_or_b32 exec_lo, exec_lo, s6
	v_lshlrev_b64_e32 v[2:3], 12, v[2:3]
	s_mov_b32 s41, s40
	s_mov_b32 s42, s40
	;; [unrolled: 1-line block ×3, first 2 shown]
	v_mov_b64_e32 v[12:13], s[40:41]
	v_mov_b64_e32 v[14:15], s[42:43]
	v_and_or_b32 v0, 0xffffff1d, v0, 34
	v_add_nc_u64_e32 v[8:9], v[8:9], v[2:3]
	v_dual_mov_b32 v2, v45 :: v_dual_mov_b32 v3, v45
	s_delay_alu instid0(VALU_DEP_2) | instskip(NEXT) | instid1(VALU_DEP_3)
	v_readfirstlane_b32 s6, v8
	v_readfirstlane_b32 s7, v9
	s_clause 0x3
	global_store_b128 v28, v[0:3], s[6:7]
	global_store_b128 v28, v[12:15], s[6:7] offset:16
	global_store_b128 v28, v[12:15], s[6:7] offset:32
	;; [unrolled: 1-line block ×3, first 2 shown]
	s_wait_xcnt 0x0
	s_and_saveexec_b32 s1, s0
	s_cbranch_execz .LBB2_521
; %bb.514:                              ;   in Loop: Header=BB2_221 Depth=2
	s_clause 0x1
	global_load_b64 v[14:15], v45, s[2:3] offset:32 scope:SCOPE_SYS
	global_load_b64 v[0:1], v45, s[2:3] offset:40
	s_mov_b32 s6, exec_lo
	v_dual_mov_b32 v12, s4 :: v_dual_mov_b32 v13, s5
	s_wait_loadcnt 0x0
	v_and_b32_e32 v1, s5, v1
	v_and_b32_e32 v0, s4, v0
	s_delay_alu instid0(VALU_DEP_1) | instskip(NEXT) | instid1(VALU_DEP_1)
	v_mul_u64_e32 v[0:1], 24, v[0:1]
	v_add_nc_u64_e32 v[6:7], v[6:7], v[0:1]
	global_store_b64 v[6:7], v[14:15], off
	global_wb scope:SCOPE_SYS
	s_wait_storecnt 0x0
	s_wait_xcnt 0x0
	global_atomic_cmpswap_b64 v[2:3], v45, v[12:15], s[2:3] offset:32 th:TH_ATOMIC_RETURN scope:SCOPE_SYS
	s_wait_loadcnt 0x0
	v_cmpx_ne_u64_e64 v[2:3], v[14:15]
	s_cbranch_execz .LBB2_517
; %bb.515:                              ;   in Loop: Header=BB2_221 Depth=2
	s_mov_b32 s7, 0
.LBB2_516:                              ;   Parent Loop BB2_13 Depth=1
                                        ;     Parent Loop BB2_221 Depth=2
                                        ; =>    This Inner Loop Header: Depth=3
	v_dual_mov_b32 v0, s4 :: v_dual_mov_b32 v1, s5
	s_sleep 1
	global_store_b64 v[6:7], v[2:3], off
	global_wb scope:SCOPE_SYS
	s_wait_storecnt 0x0
	s_wait_xcnt 0x0
	global_atomic_cmpswap_b64 v[0:1], v45, v[0:3], s[2:3] offset:32 th:TH_ATOMIC_RETURN scope:SCOPE_SYS
	s_wait_loadcnt 0x0
	v_cmp_eq_u64_e32 vcc_lo, v[0:1], v[2:3]
	v_mov_b64_e32 v[2:3], v[0:1]
	s_or_b32 s7, vcc_lo, s7
	s_delay_alu instid0(SALU_CYCLE_1)
	s_and_not1_b32 exec_lo, exec_lo, s7
	s_cbranch_execnz .LBB2_516
.LBB2_517:                              ;   in Loop: Header=BB2_221 Depth=2
	s_or_b32 exec_lo, exec_lo, s6
	global_load_b64 v[0:1], v45, s[2:3] offset:16
	s_mov_b32 s7, exec_lo
	s_mov_b32 s6, exec_lo
	v_mbcnt_lo_u32_b32 v2, s7, 0
	s_wait_xcnt 0x0
	s_delay_alu instid0(VALU_DEP_1)
	v_cmpx_eq_u32_e32 0, v2
	s_cbranch_execz .LBB2_519
; %bb.518:                              ;   in Loop: Header=BB2_221 Depth=2
	s_bcnt1_i32_b32 s7, s7
	s_delay_alu instid0(SALU_CYCLE_1)
	v_mov_b32_e32 v44, s7
	global_wb scope:SCOPE_SYS
	s_wait_loadcnt 0x0
	s_wait_storecnt 0x0
	global_atomic_add_u64 v[0:1], v[44:45], off offset:8 scope:SCOPE_SYS
.LBB2_519:                              ;   in Loop: Header=BB2_221 Depth=2
	s_wait_xcnt 0x0
	s_or_b32 exec_lo, exec_lo, s6
	s_wait_loadcnt 0x0
	global_load_b64 v[2:3], v[0:1], off offset:16
	s_wait_loadcnt 0x0
	v_cmp_eq_u64_e32 vcc_lo, 0, v[2:3]
	s_cbranch_vccnz .LBB2_521
; %bb.520:                              ;   in Loop: Header=BB2_221 Depth=2
	global_load_b32 v44, v[0:1], off offset:24
	s_wait_loadcnt 0x0
	v_readfirstlane_b32 s6, v44
	global_wb scope:SCOPE_SYS
	s_wait_storecnt 0x0
	s_wait_xcnt 0x0
	global_store_b64 v[2:3], v[44:45], off scope:SCOPE_SYS
	s_and_b32 m0, s6, 0xffffff
	s_sendmsg sendmsg(MSG_INTERRUPT)
.LBB2_521:                              ;   in Loop: Header=BB2_221 Depth=2
	s_wait_xcnt 0x0
	s_or_b32 exec_lo, exec_lo, s1
	s_branch .LBB2_525
.LBB2_522:                              ;   in Loop: Header=BB2_525 Depth=3
	s_wait_xcnt 0x0
	s_or_b32 exec_lo, exec_lo, s1
	s_delay_alu instid0(VALU_DEP_1)
	v_readfirstlane_b32 s1, v0
	s_cmp_eq_u32 s1, 0
	s_cbranch_scc1 .LBB2_524
; %bb.523:                              ;   in Loop: Header=BB2_525 Depth=3
	s_sleep 1
	s_cbranch_execnz .LBB2_525
	s_branch .LBB2_527
.LBB2_524:                              ;   in Loop: Header=BB2_221 Depth=2
	s_branch .LBB2_527
.LBB2_525:                              ;   Parent Loop BB2_13 Depth=1
                                        ;     Parent Loop BB2_221 Depth=2
                                        ; =>    This Inner Loop Header: Depth=3
	v_mov_b32_e32 v0, 1
	s_and_saveexec_b32 s1, s0
	s_cbranch_execz .LBB2_522
; %bb.526:                              ;   in Loop: Header=BB2_525 Depth=3
	global_load_b32 v0, v[10:11], off offset:20 scope:SCOPE_SYS
	s_wait_loadcnt 0x0
	global_inv scope:SCOPE_SYS
	v_and_b32_e32 v0, 1, v0
	s_branch .LBB2_522
.LBB2_527:                              ;   in Loop: Header=BB2_221 Depth=2
	s_and_b32 exec_lo, exec_lo, s0
	s_cbranch_execz .LBB2_531
; %bb.528:                              ;   in Loop: Header=BB2_221 Depth=2
	s_clause 0x2
	global_load_b64 v[0:1], v45, s[2:3] offset:40
	global_load_b64 v[10:11], v45, s[2:3] offset:24 scope:SCOPE_SYS
	global_load_b64 v[2:3], v45, s[2:3]
	s_wait_loadcnt 0x2
	v_readfirstlane_b32 s6, v0
	v_readfirstlane_b32 s7, v1
	s_add_nc_u64 s[0:1], s[6:7], 1
	s_delay_alu instid0(SALU_CYCLE_1) | instskip(NEXT) | instid1(SALU_CYCLE_1)
	s_add_nc_u64 s[4:5], s[0:1], s[4:5]
	s_cmp_eq_u64 s[4:5], 0
	s_cselect_b32 s1, s1, s5
	s_cselect_b32 s0, s0, s4
	s_delay_alu instid0(SALU_CYCLE_1) | instskip(SKIP_1) | instid1(SALU_CYCLE_1)
	v_dual_mov_b32 v9, s1 :: v_dual_mov_b32 v8, s0
	s_and_b64 s[4:5], s[0:1], s[6:7]
	s_mul_u64 s[4:5], s[4:5], 24
	s_wait_loadcnt 0x0
	v_add_nc_u64_e32 v[6:7], s[4:5], v[2:3]
	global_store_b64 v[6:7], v[10:11], off
	global_wb scope:SCOPE_SYS
	s_wait_storecnt 0x0
	s_wait_xcnt 0x0
	global_atomic_cmpswap_b64 v[2:3], v45, v[8:11], s[2:3] offset:24 th:TH_ATOMIC_RETURN scope:SCOPE_SYS
	s_wait_loadcnt 0x0
	v_cmp_ne_u64_e32 vcc_lo, v[2:3], v[10:11]
	s_and_b32 exec_lo, exec_lo, vcc_lo
	s_cbranch_execz .LBB2_531
; %bb.529:                              ;   in Loop: Header=BB2_221 Depth=2
	s_mov_b32 s4, 0
.LBB2_530:                              ;   Parent Loop BB2_13 Depth=1
                                        ;     Parent Loop BB2_221 Depth=2
                                        ; =>    This Inner Loop Header: Depth=3
	v_dual_mov_b32 v0, s0 :: v_dual_mov_b32 v1, s1
	s_sleep 1
	global_store_b64 v[6:7], v[2:3], off
	global_wb scope:SCOPE_SYS
	s_wait_storecnt 0x0
	s_wait_xcnt 0x0
	global_atomic_cmpswap_b64 v[0:1], v45, v[0:3], s[2:3] offset:24 th:TH_ATOMIC_RETURN scope:SCOPE_SYS
	s_wait_loadcnt 0x0
	v_cmp_eq_u64_e32 vcc_lo, v[0:1], v[2:3]
	v_mov_b64_e32 v[2:3], v[0:1]
	s_or_b32 s4, vcc_lo, s4
	s_delay_alu instid0(SALU_CYCLE_1)
	s_and_not1_b32 exec_lo, exec_lo, s4
	s_cbranch_execnz .LBB2_530
.LBB2_531:                              ;   in Loop: Header=BB2_221 Depth=2
	s_or_b32 exec_lo, exec_lo, s19
	s_wait_loadcnt 0x0
	scratch_load_u8 v0, off, off
	v_mov_b32_e32 v2, 0x58
	s_mov_b32 s3, exec_lo
	s_clause 0x1
	global_store_b8 v[26:27], v2, off offset:48
	global_store_b32 v[26:27], v45, off offset:52
	s_wait_xcnt 0x0
	v_cmpx_lt_i32_e32 0, v33
	s_cbranch_execz .LBB2_537
; %bb.532:                              ;   in Loop: Header=BB2_221 Depth=2
	s_mov_b32 s0, 0
                                        ; implicit-def: $vgpr1
	s_mov_b32 s1, exec_lo
	v_cmpx_lt_u32_e32 3, v33
	s_xor_b32 s4, exec_lo, s1
	s_cbranch_execnz .LBB2_545
; %bb.533:                              ;   in Loop: Header=BB2_221 Depth=2
	s_and_not1_saveexec_b32 s1, s4
	s_cbranch_execnz .LBB2_564
.LBB2_534:                              ;   in Loop: Header=BB2_221 Depth=2
	s_or_b32 exec_lo, exec_lo, s1
	v_mov_b32_e32 v2, 0x58
	s_and_saveexec_b32 s1, s0
	s_cbranch_execz .LBB2_536
.LBB2_535:                              ;   in Loop: Header=BB2_221 Depth=2
	s_wait_loadcnt 0x0
	v_mov_b32_e32 v2, v1
	global_store_b8 v[26:27], v1, off offset:48
.LBB2_536:                              ;   in Loop: Header=BB2_221 Depth=2
	s_wait_xcnt 0x0
	s_or_b32 exec_lo, exec_lo, s1
.LBB2_537:                              ;   in Loop: Header=BB2_221 Depth=2
	s_delay_alu instid0(SALU_CYCLE_1) | instskip(SKIP_3) | instid1(VALU_DEP_1)
	s_or_b32 exec_lo, exec_lo, s3
	s_wait_loadcnt 0x0
	v_and_b32_e32 v1, 0xff, v2
	v_and_b32_e32 v0, 0xff, v0
	v_cmp_eq_u16_e64 s0, v0, v1
	v_cmp_ne_u16_e32 vcc_lo, v0, v1
	v_mov_b32_e32 v0, 0
	s_and_saveexec_b32 s1, vcc_lo
	s_cbranch_execz .LBB2_543
; %bb.538:                              ;   in Loop: Header=BB2_221 Depth=2
	scratch_load_u8 v0, off, off offset:16
	s_wait_loadcnt 0x0
	v_cmp_eq_u16_e64 s2, v0, v1
	v_cmp_ne_u16_e32 vcc_lo, v0, v1
	v_mov_b32_e32 v0, s60
	s_wait_xcnt 0x0
	s_and_saveexec_b32 s3, vcc_lo
	s_cbranch_execz .LBB2_542
; %bb.539:                              ;   in Loop: Header=BB2_221 Depth=2
	scratch_load_u8 v0, off, off offset:32
	s_wait_loadcnt 0x0
	v_cmp_eq_u16_e64 s4, v0, v1
	v_cmp_ne_u16_e32 vcc_lo, v0, v1
	v_mov_b32_e32 v0, s61
	s_wait_xcnt 0x0
	s_and_saveexec_b32 s5, vcc_lo
	s_cbranch_execz .LBB2_541
; %bb.540:                              ;   in Loop: Header=BB2_221 Depth=2
	scratch_load_u8 v0, off, off offset:48
	s_and_not1_b32 s4, s4, exec_lo
	s_wait_loadcnt 0x0
	v_cmp_eq_u16_e32 vcc_lo, v0, v1
	v_mov_b32_e32 v0, s62
	s_and_b32 s6, vcc_lo, exec_lo
	s_delay_alu instid0(SALU_CYCLE_1)
	s_or_b32 s4, s4, s6
.LBB2_541:                              ;   in Loop: Header=BB2_221 Depth=2
	s_wait_xcnt 0x0
	s_or_b32 exec_lo, exec_lo, s5
	s_delay_alu instid0(SALU_CYCLE_1) | instskip(SKIP_1) | instid1(SALU_CYCLE_1)
	s_and_not1_b32 s2, s2, exec_lo
	s_and_b32 s4, s4, exec_lo
	s_or_b32 s2, s2, s4
.LBB2_542:                              ;   in Loop: Header=BB2_221 Depth=2
	s_or_b32 exec_lo, exec_lo, s3
	s_delay_alu instid0(SALU_CYCLE_1) | instskip(SKIP_1) | instid1(SALU_CYCLE_1)
	s_and_not1_b32 s0, s0, exec_lo
	s_and_b32 s2, s2, exec_lo
	s_or_b32 s0, s0, s2
.LBB2_543:                              ;   in Loop: Header=BB2_221 Depth=2
	s_or_b32 exec_lo, exec_lo, s1
	s_delay_alu instid0(SALU_CYCLE_1)
	s_and_b32 exec_lo, exec_lo, s0
	s_cbranch_execz .LBB2_220
; %bb.544:                              ;   in Loop: Header=BB2_221 Depth=2
	scratch_load_b32 v0, v0, off offset:8
	s_wait_loadcnt 0x0
	global_store_b32 v[26:27], v0, off offset:52
	s_branch .LBB2_220
.LBB2_545:                              ;   in Loop: Header=BB2_221 Depth=2
                                        ; implicit-def: $vgpr1
	s_mov_b32 s1, exec_lo
	v_cmpx_lt_u32_e32 5, v33
	s_xor_b32 s5, exec_lo, s1
	s_cbranch_execz .LBB2_561
; %bb.546:                              ;   in Loop: Header=BB2_221 Depth=2
                                        ; implicit-def: $vgpr1
	s_mov_b32 s1, exec_lo
	v_cmpx_ne_u32_e32 6, v33
	s_xor_b32 s6, exec_lo, s1
	s_cbranch_execz .LBB2_558
; %bb.547:                              ;   in Loop: Header=BB2_221 Depth=2
	s_wait_loadcnt 0x0
	v_mov_b32_e32 v1, v0
	s_mov_b32 s7, exec_lo
	v_cmp_gt_i32_e32 vcc_lo, 7, v32
	v_cmpx_lt_i32_e32 6, v32
	s_cbranch_execz .LBB2_557
; %bb.548:                              ;   in Loop: Header=BB2_221 Depth=2
	scratch_load_b32 v1, off, off offset:44
	s_wait_loadcnt 0x0
	v_cmp_eq_u32_e64 s0, 7, v1
	v_cmp_ne_u32_e64 s1, 7, v1
	v_mov_b32_e32 v1, 0x46
	s_wait_xcnt 0x0
	s_and_saveexec_b32 s10, s1
	s_cbranch_execz .LBB2_556
; %bb.549:                              ;   in Loop: Header=BB2_221 Depth=2
	s_clause 0x1
	scratch_load_b32 v2, off, off offset:8
	scratch_load_b32 v3, off, off offset:24
	v_mov_b32_e32 v1, 0x46
	s_mov_b32 s11, exec_lo
	s_wait_loadcnt 0x0
	v_cmp_eq_u32_e64 s1, v2, v3
	s_wait_xcnt 0x0
	v_cmpx_ne_u32_e64 v2, v3
	s_cbranch_execz .LBB2_555
; %bb.550:                              ;   in Loop: Header=BB2_221 Depth=2
	v_mov_b32_e32 v1, v0
	s_mov_b32 s13, -1
	s_mov_b32 s12, exec_lo
	v_cmpx_le_u32_e64 v2, v3
	s_cbranch_execz .LBB2_554
; %bb.551:                              ;   in Loop: Header=BB2_221 Depth=2
	v_cmp_gt_u32_e64 s2, v3, v2
	v_mov_b32_e32 v1, v0
	s_mov_b32 s13, 0
	s_and_saveexec_b32 s14, s2
	s_delay_alu instid0(SALU_CYCLE_1)
	s_xor_b32 s2, exec_lo, s14
	s_cbranch_execz .LBB2_553
; %bb.552:                              ;   in Loop: Header=BB2_221 Depth=2
	scratch_load_u8 v1, off, off offset:16
	s_mov_b32 s13, exec_lo
.LBB2_553:                              ;   in Loop: Header=BB2_221 Depth=2
	s_wait_xcnt 0x0
	s_or_b32 exec_lo, exec_lo, s2
	s_delay_alu instid0(SALU_CYCLE_1)
	s_or_not1_b32 s13, s13, exec_lo
.LBB2_554:                              ;   in Loop: Header=BB2_221 Depth=2
	s_or_b32 exec_lo, exec_lo, s12
	s_delay_alu instid0(SALU_CYCLE_1) | instskip(SKIP_1) | instid1(SALU_CYCLE_1)
	s_and_not1_b32 s1, s1, exec_lo
	s_and_b32 s2, s13, exec_lo
	s_or_b32 s1, s1, s2
.LBB2_555:                              ;   in Loop: Header=BB2_221 Depth=2
	s_or_b32 exec_lo, exec_lo, s11
	s_delay_alu instid0(SALU_CYCLE_1) | instskip(SKIP_1) | instid1(SALU_CYCLE_1)
	s_and_not1_b32 s0, s0, exec_lo
	s_and_b32 s1, s1, exec_lo
	s_or_b32 s0, s0, s1
.LBB2_556:                              ;   in Loop: Header=BB2_221 Depth=2
	s_or_b32 exec_lo, exec_lo, s10
	s_delay_alu instid0(SALU_CYCLE_1) | instskip(SKIP_1) | instid1(SALU_CYCLE_1)
	s_and_not1_b32 s1, vcc_lo, exec_lo
	s_and_b32 s0, s0, exec_lo
	s_or_b32 vcc_lo, s1, s0
.LBB2_557:                              ;   in Loop: Header=BB2_221 Depth=2
	s_or_b32 exec_lo, exec_lo, s7
	s_delay_alu instid0(SALU_CYCLE_1)
	s_and_b32 s0, vcc_lo, exec_lo
                                        ; implicit-def: $vgpr32
.LBB2_558:                              ;   in Loop: Header=BB2_221 Depth=2
	s_and_not1_saveexec_b32 s1, s6
	s_cbranch_execz .LBB2_560
; %bb.559:                              ;   in Loop: Header=BB2_221 Depth=2
	v_cmp_gt_i32_e32 vcc_lo, 4, v32
	s_wait_loadcnt 0x0
	v_mov_b32_e32 v1, v0
	s_and_not1_b32 s0, s0, exec_lo
	s_and_b32 s2, vcc_lo, exec_lo
	s_delay_alu instid0(SALU_CYCLE_1)
	s_or_b32 s0, s0, s2
.LBB2_560:                              ;   in Loop: Header=BB2_221 Depth=2
	s_or_b32 exec_lo, exec_lo, s1
	s_delay_alu instid0(SALU_CYCLE_1)
	s_and_b32 s0, s0, exec_lo
                                        ; implicit-def: $vgpr32
.LBB2_561:                              ;   in Loop: Header=BB2_221 Depth=2
	s_and_not1_saveexec_b32 s1, s5
	s_cbranch_execz .LBB2_563
; %bb.562:                              ;   in Loop: Header=BB2_221 Depth=2
	v_cmp_gt_i32_e32 vcc_lo, 3, v32
	s_wait_loadcnt 0x0
	v_mov_b32_e32 v1, v0
	s_and_not1_b32 s0, s0, exec_lo
	s_and_b32 s2, vcc_lo, exec_lo
	s_delay_alu instid0(SALU_CYCLE_1)
	s_or_b32 s0, s0, s2
.LBB2_563:                              ;   in Loop: Header=BB2_221 Depth=2
	s_or_b32 exec_lo, exec_lo, s1
	s_delay_alu instid0(SALU_CYCLE_1)
	s_and_b32 s0, s0, exec_lo
                                        ; implicit-def: $vgpr32
	s_and_not1_saveexec_b32 s1, s4
	s_cbranch_execz .LBB2_534
.LBB2_564:                              ;   in Loop: Header=BB2_221 Depth=2
	v_cmp_eq_u32_e32 vcc_lo, 0, v32
	s_wait_loadcnt 0x0
	v_mov_b32_e32 v1, v0
	s_and_not1_b32 s0, s0, exec_lo
	s_and_b32 s2, vcc_lo, exec_lo
	s_delay_alu instid0(SALU_CYCLE_1)
	s_or_b32 s0, s0, s2
	s_or_b32 exec_lo, exec_lo, s1
	v_mov_b32_e32 v2, 0x58
	s_and_saveexec_b32 s1, s0
	s_cbranch_execnz .LBB2_535
	s_branch .LBB2_536
.LBB2_565:                              ;   in Loop: Header=BB2_13 Depth=1
	s_or_b32 exec_lo, exec_lo, s16
	s_and_saveexec_b32 s0, s34
	s_cbranch_execz .LBB2_568
; %bb.566:                              ;   in Loop: Header=BB2_13 Depth=1
	v_mov_b64_e32 v[0:1], v[72:73]
	v_mov_b32_e32 v44, v83
	s_mov_b32 s1, 0
.LBB2_567:                              ;   Parent Loop BB2_13 Depth=1
                                        ; =>  This Inner Loop Header: Depth=2
	s_delay_alu instid0(VALU_DEP_2) | instskip(NEXT) | instid1(VALU_DEP_2)
	v_mad_nc_u64_u32 v[2:3], v0, 24, v[64:65]
	v_cmp_le_u64_e32 vcc_lo, s[52:53], v[44:45]
	s_or_b32 s1, vcc_lo, s1
	s_delay_alu instid0(VALU_DEP_2)
	v_mad_u32 v3, v1, 24, v3
	v_mov_b64_e32 v[0:1], v[44:45]
	v_add_nc_u32_e32 v44, 64, v44
	global_store_b32 v[2:3], v99, off offset:8
	s_wait_xcnt 0x0
	s_and_not1_b32 exec_lo, exec_lo, s1
	s_cbranch_execnz .LBB2_567
.LBB2_568:                              ;   in Loop: Header=BB2_13 Depth=1
	s_or_b32 exec_lo, exec_lo, s0
	s_mov_b32 s4, -1
	s_mov_b32 s0, -1
	s_and_saveexec_b32 s5, s33
	s_cbranch_execz .LBB2_709
; %bb.569:                              ;   in Loop: Header=BB2_13 Depth=1
	v_dual_sub_nc_u32 v0, v43, v4 :: v_dual_max_i32 v2, 1, v4
	s_mov_b64 s[0:1], 0
	s_mov_b32 s2, 0
	s_delay_alu instid0(VALU_DEP_1) | instskip(NEXT) | instid1(VALU_DEP_1)
	v_ashrrev_i32_e32 v1, 31, v0
	v_add_nc_u64_e32 v[0:1], v[70:71], v[0:1]
.LBB2_570:                              ;   Parent Loop BB2_13 Depth=1
                                        ; =>  This Inner Loop Header: Depth=2
	s_delay_alu instid0(VALU_DEP_1) | instskip(SKIP_4) | instid1(SALU_CYCLE_1)
	v_add_nc_u64_e32 v[6:7], s[0:1], v[0:1]
	global_load_u8 v3, v[6:7], off
	s_wait_xcnt 0x0
	v_add_nc_u64_e32 v[6:7], s[0:1], v[66:67]
	s_add_nc_u64 s[0:1], s[0:1], 1
	v_cmp_eq_u32_e32 vcc_lo, s0, v2
	s_or_b32 s2, vcc_lo, s2
	s_wait_loadcnt 0x0
	global_store_b8 v[6:7], v3, off
	s_wait_xcnt 0x0
	s_and_not1_b32 exec_lo, exec_lo, s2
	s_cbranch_execnz .LBB2_570
; %bb.571:                              ;   in Loop: Header=BB2_13 Depth=1
	s_or_b32 exec_lo, exec_lo, s2
	v_dual_mov_b32 v0, v4 :: v_dual_mov_b32 v1, v45
	s_and_not1_b32 vcc_lo, exec_lo, s64
	s_cbranch_vccnz .LBB2_695
; %bb.572:                              ;   in Loop: Header=BB2_13 Depth=1
	v_mov_b64_e32 v[2:3], v[66:67]
	v_xor_b32_e32 v10, 0x3fb0bb5f, v4
	v_dual_mov_b32 v12, 0x58 :: v_dual_add_nc_u32 v11, 4, v4
	v_mov_b32_e32 v5, 0
	s_mov_b32 s6, 0
	s_mov_b32 s7, 0
	s_branch .LBB2_577
.LBB2_573:                              ;   in Loop: Header=BB2_577 Depth=2
	s_or_b32 exec_lo, exec_lo, s12
	s_and_b32 s0, vcc_lo, s0
	s_delay_alu instid0(SALU_CYCLE_1)
	s_and_b32 s0, s0, exec_lo
.LBB2_574:                              ;   in Loop: Header=BB2_577 Depth=2
	s_or_b32 exec_lo, exec_lo, s10
	s_delay_alu instid0(SALU_CYCLE_1)
	s_and_b32 s0, s0, exec_lo
.LBB2_575:                              ;   in Loop: Header=BB2_577 Depth=2
	s_or_b32 exec_lo, exec_lo, s3
	s_delay_alu instid0(SALU_CYCLE_1)
	s_and_b32 s0, s0, exec_lo
.LBB2_576:                              ;   in Loop: Header=BB2_577 Depth=2
	s_or_b32 exec_lo, exec_lo, s2
	s_add_co_i32 s7, s7, 1
	v_mov_b32_e32 v12, v14
	s_cmp_eq_u32 s7, s52
	s_cselect_b32 s1, -1, 0
	s_xor_b32 s0, s0, -1
	s_delay_alu instid0(SALU_CYCLE_1) | instskip(NEXT) | instid1(SALU_CYCLE_1)
	s_or_b32 s0, s0, s1
	s_and_b32 s0, exec_lo, s0
	s_delay_alu instid0(SALU_CYCLE_1) | instskip(NEXT) | instid1(SALU_CYCLE_1)
	s_or_b32 s6, s0, s6
	s_and_not1_b32 exec_lo, exec_lo, s6
	s_cbranch_execz .LBB2_694
.LBB2_577:                              ;   Parent Loop BB2_13 Depth=1
                                        ; =>  This Loop Header: Depth=2
                                        ;       Child Loop BB2_583 Depth 3
                                        ;       Child Loop BB2_602 Depth 3
                                        ;       Child Loop BB2_611 Depth 3
                                        ;         Child Loop BB2_613 Depth 4
                                        ;       Child Loop BB2_627 Depth 3
                                        ;       Child Loop BB2_646 Depth 3
	;; [unrolled: 1-line block ×3, first 2 shown]
                                        ;         Child Loop BB2_657 Depth 4
	v_and_b32_e32 v44, 3, v2
                                        ; implicit-def: $vgpr16
	s_delay_alu instid0(VALU_DEP_1) | instskip(SKIP_1) | instid1(SALU_CYCLE_1)
	v_cmp_ne_u32_e32 vcc_lo, 0, v44
	s_and_saveexec_b32 s0, vcc_lo
	s_xor_b32 s1, exec_lo, s0
	s_cbranch_execz .LBB2_600
; %bb.578:                              ;   in Loop: Header=BB2_577 Depth=2
	v_mov_b32_e32 v6, 0
	s_mov_b32 s2, exec_lo
	v_cmpx_gt_i32_e32 3, v44
	s_cbranch_execz .LBB2_582
; %bb.579:                              ;   in Loop: Header=BB2_577 Depth=2
	v_mov_b32_e32 v6, 0
	s_mov_b32 s3, exec_lo
	v_cmpx_ne_u32_e32 2, v44
	s_cbranch_execz .LBB2_581
; %bb.580:                              ;   in Loop: Header=BB2_577 Depth=2
	global_load_u8 v6, v[2:3], off offset:2
	s_wait_loadcnt 0x0
	v_lshlrev_b32_e32 v6, 16, v6
.LBB2_581:                              ;   in Loop: Header=BB2_577 Depth=2
	s_wait_xcnt 0x0
	s_or_b32 exec_lo, exec_lo, s3
	global_load_u8 v7, v[2:3], off offset:1
	s_wait_loadcnt 0x0
	v_lshl_or_b32 v6, v7, 8, v6
.LBB2_582:                              ;   in Loop: Header=BB2_577 Depth=2
	s_wait_xcnt 0x0
	s_or_b32 exec_lo, exec_lo, s2
	global_load_u8 v7, v[2:3], off
	v_dual_mov_b32 v9, v45 :: v_dual_sub_nc_u32 v8, 4, v44
	v_lshlrev_b32_e32 v17, 3, v44
	s_mov_b32 s2, 0
	s_delay_alu instid0(VALU_DEP_2) | instskip(SKIP_3) | instid1(VALU_DEP_2)
	v_dual_mov_b32 v14, v10 :: v_dual_lshlrev_b32 v18, 3, v8
	s_wait_loadcnt 0x0
	v_or_b32_e32 v13, v6, v7
	v_add_nc_u64_e32 v[6:7], v[2:3], v[8:9]
	v_dual_add_nc_u32 v15, v4, v44 :: v_dual_lshlrev_b32 v8, v17, v13
.LBB2_583:                              ;   Parent Loop BB2_13 Depth=1
                                        ;     Parent Loop BB2_577 Depth=2
                                        ; =>    This Inner Loop Header: Depth=3
	global_load_b32 v13, v[6:7], off
	v_dual_lshrrev_b32 v8, v17, v8 :: v_dual_add_nc_u32 v15, -4, v15
	s_wait_xcnt 0x0
	v_add_nc_u64_e32 v[6:7], 4, v[6:7]
	s_delay_alu instid0(VALU_DEP_2) | instskip(SKIP_3) | instid1(VALU_DEP_1)
	v_cmp_gt_u32_e64 s0, 8, v15
	s_or_b32 s2, s0, s2
	s_wait_loadcnt 0x0
	v_lshl_or_b32 v8, v13, v18, v8
	v_mul_lo_u32 v8, 0x5bd1e995, v8
	s_delay_alu instid0(VALU_DEP_1) | instskip(NEXT) | instid1(VALU_DEP_1)
	v_lshrrev_b32_e32 v9, 24, v8
	v_xor_b32_e32 v8, v9, v8
	v_mul_lo_u32 v9, 0x5bd1e995, v14
	s_delay_alu instid0(VALU_DEP_2) | instskip(NEXT) | instid1(VALU_DEP_1)
	v_mul_lo_u32 v14, 0x5bd1e995, v8
	v_dual_mov_b32 v8, v13 :: v_dual_bitop2_b32 v14, v14, v9 bitop3:0x14
	s_and_not1_b32 exec_lo, exec_lo, s2
	s_cbranch_execnz .LBB2_583
; %bb.584:                              ;   in Loop: Header=BB2_577 Depth=2
	s_or_b32 exec_lo, exec_lo, s2
	v_add_nc_u64_e32 v[8:9], -4, v[6:7]
	v_add_nc_u32_e32 v19, -4, v15
	s_mov_b32 s2, exec_lo
                                        ; implicit-def: $vgpr16
	s_delay_alu instid0(VALU_DEP_1)
	v_cmpx_ge_u32_e64 v19, v44
	s_xor_b32 s2, exec_lo, s2
	s_cbranch_execz .LBB2_594
; %bb.585:                              ;   in Loop: Header=BB2_577 Depth=2
	v_cmp_lt_i32_e64 s0, 2, v44
	s_mov_b32 s3, 0
                                        ; implicit-def: $vgpr16
	s_and_saveexec_b32 s10, s0
	s_delay_alu instid0(SALU_CYCLE_1)
	s_xor_b32 s0, exec_lo, s10
	s_cbranch_execnz .LBB2_672
; %bb.586:                              ;   in Loop: Header=BB2_577 Depth=2
	s_and_not1_saveexec_b32 s10, s0
	s_cbranch_execnz .LBB2_673
.LBB2_587:                              ;   in Loop: Header=BB2_577 Depth=2
	s_or_b32 exec_lo, exec_lo, s10
	v_mov_b32_e32 v20, 0
	s_and_saveexec_b32 s0, s3
	s_cbranch_execz .LBB2_589
.LBB2_588:                              ;   in Loop: Header=BB2_577 Depth=2
	global_load_u8 v20, v[8:9], off offset:5
	s_wait_loadcnt 0x0
	v_lshl_or_b32 v20, v20, 8, v16
.LBB2_589:                              ;   in Loop: Header=BB2_577 Depth=2
	s_wait_xcnt 0x0
	s_or_b32 exec_lo, exec_lo, s0
	global_load_u8 v16, v[6:7], off
	v_lshrrev_b32_e32 v17, v17, v13
	v_add_nc_u64_e32 v[8:9], v[8:9], v[44:45]
	s_mov_b32 s3, 0
	s_wait_loadcnt 0x0
	v_or_b32_e32 v16, v20, v16
	s_delay_alu instid0(VALU_DEP_1) | instskip(NEXT) | instid1(VALU_DEP_1)
	v_lshl_or_b32 v16, v16, v18, v17
	v_mul_lo_u32 v16, 0x5bd1e995, v16
	s_delay_alu instid0(VALU_DEP_1) | instskip(NEXT) | instid1(VALU_DEP_1)
	v_lshrrev_b32_e32 v17, 24, v16
	v_xor_b32_e32 v16, v17, v16
	v_mul_lo_u32 v17, 0x5bd1e995, v14
	s_delay_alu instid0(VALU_DEP_2) | instskip(NEXT) | instid1(VALU_DEP_1)
	v_mul_lo_u32 v16, 0x5bd1e995, v16
	v_dual_sub_nc_u32 v18, v19, v44 :: v_dual_bitop2_b32 v16, v16, v17 bitop3:0x14
	s_delay_alu instid0(VALU_DEP_1) | instskip(SKIP_2) | instid1(SALU_CYCLE_1)
	v_cmp_lt_i32_e64 s0, 1, v18
                                        ; implicit-def: $vgpr17
	s_wait_xcnt 0x0
	s_and_saveexec_b32 s10, s0
	s_xor_b32 s0, exec_lo, s10
	s_cbranch_execnz .LBB2_674
; %bb.590:                              ;   in Loop: Header=BB2_577 Depth=2
	s_and_not1_saveexec_b32 s10, s0
	s_cbranch_execnz .LBB2_675
.LBB2_591:                              ;   in Loop: Header=BB2_577 Depth=2
	s_or_b32 exec_lo, exec_lo, s10
	s_and_saveexec_b32 s0, s3
	s_cbranch_execz .LBB2_593
.LBB2_592:                              ;   in Loop: Header=BB2_577 Depth=2
	global_load_u8 v8, v[8:9], off offset:4
	s_wait_loadcnt 0x0
	v_xor_b32_e32 v8, v17, v8
	s_delay_alu instid0(VALU_DEP_1)
	v_mul_lo_u32 v16, 0x5bd1e995, v8
.LBB2_593:                              ;   in Loop: Header=BB2_577 Depth=2
	s_or_b32 exec_lo, exec_lo, s0
                                        ; implicit-def: $vgpr17
                                        ; implicit-def: $vgpr18
                                        ; implicit-def: $vgpr8_vgpr9
.LBB2_594:                              ;   in Loop: Header=BB2_577 Depth=2
	s_and_not1_saveexec_b32 s2, s2
	s_cbranch_execz .LBB2_663
; %bb.595:                              ;   in Loop: Header=BB2_577 Depth=2
	v_cmp_lt_i32_e64 s0, 5, v15
	s_mov_b32 s3, 0
                                        ; implicit-def: $vgpr16
	s_and_saveexec_b32 s10, s0
	s_delay_alu instid0(SALU_CYCLE_1)
	s_xor_b32 s0, exec_lo, s10
	s_cbranch_execnz .LBB2_676
; %bb.596:                              ;   in Loop: Header=BB2_577 Depth=2
	s_and_not1_saveexec_b32 s10, s0
	s_cbranch_execnz .LBB2_677
.LBB2_597:                              ;   in Loop: Header=BB2_577 Depth=2
	s_or_b32 exec_lo, exec_lo, s10
	v_mov_b32_e32 v8, 0
	s_and_saveexec_b32 s0, s3
	s_cbranch_execz .LBB2_599
.LBB2_598:                              ;   in Loop: Header=BB2_577 Depth=2
	global_load_u8 v6, v[6:7], off
	s_wait_loadcnt 0x0
	v_or_b32_e32 v8, v16, v6
.LBB2_599:                              ;   in Loop: Header=BB2_577 Depth=2
	s_wait_xcnt 0x0
	s_or_b32 exec_lo, exec_lo, s0
	s_delay_alu instid0(VALU_DEP_1) | instskip(NEXT) | instid1(VALU_DEP_1)
	v_dual_lshrrev_b32 v6, v17, v13 :: v_dual_lshlrev_b32 v7, v18, v8
	v_bitop3_b32 v6, v7, v14, v6 bitop3:0x36
	s_delay_alu instid0(VALU_DEP_1)
	v_mul_lo_u32 v16, 0x5bd1e995, v6
	s_or_b32 exec_lo, exec_lo, s2
.LBB2_600:                              ;   in Loop: Header=BB2_577 Depth=2
	s_and_not1_saveexec_b32 s1, s1
	s_cbranch_execz .LBB2_608
.LBB2_601:                              ;   in Loop: Header=BB2_577 Depth=2
	v_mov_b64_e32 v[6:7], v[2:3]
	v_dual_mov_b32 v8, v11 :: v_dual_mov_b32 v16, v10
	s_mov_b32 s2, 0
.LBB2_602:                              ;   Parent Loop BB2_13 Depth=1
                                        ;     Parent Loop BB2_577 Depth=2
                                        ; =>    This Inner Loop Header: Depth=3
	global_load_b32 v9, v[6:7], off
	s_wait_xcnt 0x0
	v_add_nc_u64_e32 v[6:7], 4, v[6:7]
	v_add_nc_u32_e32 v8, -4, v8
	s_delay_alu instid0(VALU_DEP_1) | instskip(SKIP_3) | instid1(VALU_DEP_1)
	v_cmp_gt_u32_e64 s0, 8, v8
	s_or_b32 s2, s0, s2
	s_wait_loadcnt 0x0
	v_mul_lo_u32 v9, 0x5bd1e995, v9
	v_lshrrev_b32_e32 v13, 24, v9
	s_delay_alu instid0(VALU_DEP_1) | instskip(SKIP_1) | instid1(VALU_DEP_2)
	v_xor_b32_e32 v9, v13, v9
	v_mul_lo_u32 v13, 0x5bd1e995, v16
	v_mul_lo_u32 v9, 0x5bd1e995, v9
	s_delay_alu instid0(VALU_DEP_1)
	v_xor_b32_e32 v16, v9, v13
	s_and_not1_b32 exec_lo, exec_lo, s2
	s_cbranch_execnz .LBB2_602
; %bb.603:                              ;   in Loop: Header=BB2_577 Depth=2
	s_or_b32 exec_lo, exec_lo, s2
	s_mov_b32 s2, 0
	s_mov_b32 s3, exec_lo
                                        ; implicit-def: $vgpr9
	v_cmpx_lt_i32_e32 5, v8
	s_xor_b32 s3, exec_lo, s3
	s_cbranch_execnz .LBB2_664
; %bb.604:                              ;   in Loop: Header=BB2_577 Depth=2
	s_and_not1_saveexec_b32 s3, s3
	s_cbranch_execnz .LBB2_667
.LBB2_605:                              ;   in Loop: Header=BB2_577 Depth=2
	s_or_b32 exec_lo, exec_lo, s3
	s_and_saveexec_b32 s0, s2
	s_cbranch_execz .LBB2_607
.LBB2_606:                              ;   in Loop: Header=BB2_577 Depth=2
	global_load_u8 v6, v[6:7], off
	s_wait_loadcnt 0x0
	v_xor_b32_e32 v6, v9, v6
	s_delay_alu instid0(VALU_DEP_1)
	v_mul_lo_u32 v16, 0x5bd1e995, v6
.LBB2_607:                              ;   in Loop: Header=BB2_577 Depth=2
	s_or_b32 exec_lo, exec_lo, s0
.LBB2_608:                              ;   in Loop: Header=BB2_577 Depth=2
	s_delay_alu instid0(SALU_CYCLE_1) | instskip(NEXT) | instid1(VALU_DEP_1)
	s_or_b32 exec_lo, exec_lo, s1
	v_lshrrev_b32_e32 v6, 13, v16
	s_mov_b32 s3, -1
	s_mov_b32 s1, exec_lo
	s_delay_alu instid0(VALU_DEP_1) | instskip(NEXT) | instid1(VALU_DEP_1)
	v_xor_b32_e32 v6, v6, v16
	v_mul_lo_u32 v6, 0x5bd1e995, v6
	s_delay_alu instid0(VALU_DEP_1) | instskip(NEXT) | instid1(VALU_DEP_1)
	v_lshrrev_b32_e32 v7, 15, v6
	v_dual_mov_b32 v7, v45 :: v_dual_bitop2_b32 v6, v7, v6 bitop3:0x14
	s_delay_alu instid0(VALU_DEP_1) | instskip(NEXT) | instid1(VALU_DEP_1)
	v_mul_u64_e32 v[8:9], s[56:57], v[6:7]
	v_mul_lo_u32 v7, v9, s52
	s_delay_alu instid0(VALU_DEP_1) | instskip(NEXT) | instid1(VALU_DEP_1)
	v_sub_nc_u32_e32 v6, v6, v7
	v_subrev_nc_u32_e32 v7, s52, v6
	v_cmp_le_u32_e64 s0, s52, v6
	s_delay_alu instid0(VALU_DEP_1) | instskip(NEXT) | instid1(VALU_DEP_1)
	v_cndmask_b32_e64 v6, v6, v7, s0
	v_subrev_nc_u32_e32 v7, s52, v6
	v_cmp_le_u32_e64 s0, s52, v6
	s_delay_alu instid0(VALU_DEP_1) | instskip(NEXT) | instid1(VALU_DEP_1)
	v_cndmask_b32_e64 v8, v6, v7, s0
	v_mad_nc_u64_u32 v[6:7], v8, 24, v[64:65]
	global_load_b32 v9, v[6:7], off offset:8
	s_wait_loadcnt 0x0
	v_cmpx_ne_u32_e32 -1, v9
	s_cbranch_execz .LBB2_620
; %bb.609:                              ;   in Loop: Header=BB2_577 Depth=2
	s_mov_b32 s10, 0
                                        ; implicit-def: $sgpr11
	s_branch .LBB2_611
.LBB2_610:                              ;   in Loop: Header=BB2_611 Depth=3
	s_wait_xcnt 0x0
	s_or_b32 exec_lo, exec_lo, s12
	s_xor_b32 s0, s3, -1
	s_and_b32 s2, exec_lo, s2
	s_delay_alu instid0(SALU_CYCLE_1) | instskip(SKIP_2) | instid1(SALU_CYCLE_1)
	s_or_b32 s10, s2, s10
	s_and_not1_b32 s2, s11, exec_lo
	s_and_b32 s0, s0, exec_lo
	s_or_b32 s11, s2, s0
	s_and_not1_b32 exec_lo, exec_lo, s10
	s_cbranch_execz .LBB2_619
.LBB2_611:                              ;   Parent Loop BB2_13 Depth=1
                                        ;     Parent Loop BB2_577 Depth=2
                                        ; =>    This Loop Header: Depth=3
                                        ;         Child Loop BB2_613 Depth 4
	global_load_b64 v[6:7], v[6:7], off
	s_mov_b64 s[2:3], 0
	s_mov_b32 s13, 0
                                        ; implicit-def: $sgpr12
                                        ; implicit-def: $sgpr15
                                        ; implicit-def: $sgpr14
	s_branch .LBB2_613
.LBB2_612:                              ;   in Loop: Header=BB2_613 Depth=4
	s_or_b32 exec_lo, exec_lo, s16
	s_xor_b32 s0, s14, -1
	s_and_b32 s16, exec_lo, s15
	s_delay_alu instid0(SALU_CYCLE_1) | instskip(SKIP_2) | instid1(SALU_CYCLE_1)
	s_or_b32 s13, s16, s13
	s_and_not1_b32 s12, s12, exec_lo
	s_and_b32 s0, s0, exec_lo
	s_or_b32 s12, s12, s0
	s_and_not1_b32 exec_lo, exec_lo, s13
	s_cbranch_execz .LBB2_615
.LBB2_613:                              ;   Parent Loop BB2_13 Depth=1
                                        ;     Parent Loop BB2_577 Depth=2
                                        ;       Parent Loop BB2_611 Depth=3
                                        ; =>      This Inner Loop Header: Depth=4
	s_wait_loadcnt 0x0
	v_add_nc_u64_e32 v[14:15], s[2:3], v[6:7]
	v_add_nc_u64_e32 v[16:17], s[2:3], v[2:3]
	s_or_b32 s14, s14, exec_lo
	s_or_b32 s15, s15, exec_lo
	s_mov_b32 s16, exec_lo
	flat_load_u8 v13, v[14:15]
	global_load_u8 v14, v[16:17], off
	s_wait_loadcnt_dscnt 0x0
	v_cmpx_eq_u16_e64 v13, v14
	s_cbranch_execz .LBB2_612
; %bb.614:                              ;   in Loop: Header=BB2_613 Depth=4
	s_add_nc_u64 s[2:3], s[2:3], 1
	s_and_not1_b32 s15, s15, exec_lo
	v_cmp_eq_u32_e64 s0, s2, v4
	s_and_not1_b32 s14, s14, exec_lo
	s_and_b32 s0, s0, exec_lo
	s_delay_alu instid0(SALU_CYCLE_1)
	s_or_b32 s15, s15, s0
	s_branch .LBB2_612
.LBB2_615:                              ;   in Loop: Header=BB2_611 Depth=3
	s_or_b32 exec_lo, exec_lo, s13
	s_mov_b32 s2, -1
	s_mov_b32 s0, -1
	s_and_saveexec_b32 s3, s12
	s_delay_alu instid0(SALU_CYCLE_1)
	s_xor_b32 s3, exec_lo, s3
; %bb.616:                              ;   in Loop: Header=BB2_611 Depth=3
	v_cmp_ne_u32_e64 s0, v9, v4
	s_or_not1_b32 s0, s0, exec_lo
; %bb.617:                              ;   in Loop: Header=BB2_611 Depth=3
	s_or_b32 exec_lo, exec_lo, s3
	s_mov_b32 s3, -1
                                        ; implicit-def: $vgpr6_vgpr7
                                        ; implicit-def: $vgpr9
	s_and_saveexec_b32 s12, s0
	s_cbranch_execz .LBB2_610
; %bb.618:                              ;   in Loop: Header=BB2_611 Depth=3
	v_add_nc_u32_e32 v6, 1, v8
	s_xor_b32 s3, exec_lo, -1
	s_delay_alu instid0(VALU_DEP_1) | instskip(NEXT) | instid1(VALU_DEP_1)
	v_cmp_ne_u32_e64 s0, s52, v6
	v_cndmask_b32_e64 v8, 0, v6, s0
	s_delay_alu instid0(VALU_DEP_1)
	v_mad_nc_u64_u32 v[6:7], v8, 24, v[64:65]
	global_load_b32 v9, v[6:7], off offset:8
	s_wait_loadcnt 0x0
	v_cmp_eq_u32_e64 s0, -1, v9
	s_or_not1_b32 s2, s0, exec_lo
	s_branch .LBB2_610
.LBB2_619:                              ;   in Loop: Header=BB2_577 Depth=2
	s_or_b32 exec_lo, exec_lo, s10
	s_delay_alu instid0(SALU_CYCLE_1)
	s_or_not1_b32 s3, s11, exec_lo
.LBB2_620:                              ;   in Loop: Header=BB2_577 Depth=2
	s_or_b32 exec_lo, exec_lo, s1
	v_mov_b32_e32 v14, 0x52
	s_mov_b32 s0, 0
	s_and_saveexec_b32 s2, s3
	s_cbranch_execz .LBB2_576
; %bb.621:                              ;   in Loop: Header=BB2_577 Depth=2
	s_clause 0x1
	global_store_b96 v[6:7], v[2:4], off
	global_store_b8 v[6:7], v98, off offset:16
                                        ; implicit-def: $vgpr16
	s_wait_xcnt 0x0
	s_and_saveexec_b32 s0, vcc_lo
	s_delay_alu instid0(SALU_CYCLE_1)
	s_xor_b32 s0, exec_lo, s0
	s_cbranch_execz .LBB2_644
; %bb.622:                              ;   in Loop: Header=BB2_577 Depth=2
	v_mov_b32_e32 v6, 0
	s_mov_b32 s1, exec_lo
	v_cmpx_gt_i32_e32 3, v44
	s_cbranch_execz .LBB2_626
; %bb.623:                              ;   in Loop: Header=BB2_577 Depth=2
	v_mov_b32_e32 v6, 0
	s_mov_b32 s3, exec_lo
	v_cmpx_ne_u32_e32 2, v44
	s_cbranch_execz .LBB2_625
; %bb.624:                              ;   in Loop: Header=BB2_577 Depth=2
	global_load_u8 v6, v[2:3], off offset:2
	s_wait_loadcnt 0x0
	v_lshlrev_b32_e32 v6, 16, v6
.LBB2_625:                              ;   in Loop: Header=BB2_577 Depth=2
	s_wait_xcnt 0x0
	s_or_b32 exec_lo, exec_lo, s3
	global_load_u8 v7, v[2:3], off offset:1
	s_wait_loadcnt 0x0
	v_lshl_or_b32 v6, v7, 8, v6
.LBB2_626:                              ;   in Loop: Header=BB2_577 Depth=2
	s_wait_xcnt 0x0
	s_or_b32 exec_lo, exec_lo, s1
	global_load_u8 v7, v[2:3], off
	v_dual_mov_b32 v9, v45 :: v_dual_sub_nc_u32 v8, 4, v44
	v_lshlrev_b32_e32 v17, 3, v44
	s_mov_b32 s1, 0
	s_delay_alu instid0(VALU_DEP_2) | instskip(SKIP_3) | instid1(VALU_DEP_2)
	v_dual_mov_b32 v14, v10 :: v_dual_lshlrev_b32 v18, 3, v8
	s_wait_loadcnt 0x0
	v_or_b32_e32 v13, v6, v7
	v_add_nc_u64_e32 v[6:7], v[2:3], v[8:9]
	v_dual_add_nc_u32 v15, v4, v44 :: v_dual_lshlrev_b32 v8, v17, v13
.LBB2_627:                              ;   Parent Loop BB2_13 Depth=1
                                        ;     Parent Loop BB2_577 Depth=2
                                        ; =>    This Inner Loop Header: Depth=3
	global_load_b32 v13, v[6:7], off
	v_dual_lshrrev_b32 v8, v17, v8 :: v_dual_add_nc_u32 v15, -4, v15
	s_wait_xcnt 0x0
	v_add_nc_u64_e32 v[6:7], 4, v[6:7]
	s_delay_alu instid0(VALU_DEP_2) | instskip(SKIP_3) | instid1(VALU_DEP_1)
	v_cmp_gt_u32_e32 vcc_lo, 8, v15
	s_or_b32 s1, vcc_lo, s1
	s_wait_loadcnt 0x0
	v_lshl_or_b32 v8, v13, v18, v8
	v_mul_lo_u32 v8, 0x5bd1e995, v8
	s_delay_alu instid0(VALU_DEP_1) | instskip(NEXT) | instid1(VALU_DEP_1)
	v_lshrrev_b32_e32 v9, 24, v8
	v_xor_b32_e32 v8, v9, v8
	v_mul_lo_u32 v9, 0x5bd1e995, v14
	s_delay_alu instid0(VALU_DEP_2) | instskip(NEXT) | instid1(VALU_DEP_1)
	v_mul_lo_u32 v14, 0x5bd1e995, v8
	v_dual_mov_b32 v8, v13 :: v_dual_bitop2_b32 v14, v14, v9 bitop3:0x14
	s_and_not1_b32 exec_lo, exec_lo, s1
	s_cbranch_execnz .LBB2_627
; %bb.628:                              ;   in Loop: Header=BB2_577 Depth=2
	s_or_b32 exec_lo, exec_lo, s1
	v_add_nc_u64_e32 v[8:9], -4, v[6:7]
	v_add_nc_u32_e32 v19, -4, v15
	s_mov_b32 s1, exec_lo
                                        ; implicit-def: $vgpr16
	s_delay_alu instid0(VALU_DEP_1)
	v_cmpx_ge_u32_e64 v19, v44
	s_xor_b32 s1, exec_lo, s1
	s_cbranch_execz .LBB2_638
; %bb.629:                              ;   in Loop: Header=BB2_577 Depth=2
	s_mov_b32 s3, 0
	s_mov_b32 s10, exec_lo
                                        ; implicit-def: $vgpr16
	v_cmpx_lt_i32_e32 2, v44
	s_xor_b32 s10, exec_lo, s10
	s_cbranch_execnz .LBB2_683
; %bb.630:                              ;   in Loop: Header=BB2_577 Depth=2
	s_and_not1_saveexec_b32 s10, s10
	s_cbranch_execnz .LBB2_684
.LBB2_631:                              ;   in Loop: Header=BB2_577 Depth=2
	s_or_b32 exec_lo, exec_lo, s10
	v_mov_b32_e32 v20, 0
	s_and_saveexec_b32 s10, s3
	s_cbranch_execz .LBB2_633
.LBB2_632:                              ;   in Loop: Header=BB2_577 Depth=2
	global_load_u8 v20, v[8:9], off offset:5
	s_wait_loadcnt 0x0
	v_lshl_or_b32 v20, v20, 8, v16
.LBB2_633:                              ;   in Loop: Header=BB2_577 Depth=2
	s_wait_xcnt 0x0
	s_or_b32 exec_lo, exec_lo, s10
	global_load_u8 v16, v[6:7], off
	v_lshrrev_b32_e32 v17, v17, v13
	v_add_nc_u64_e32 v[8:9], v[8:9], v[44:45]
	s_mov_b32 s3, 0
	s_mov_b32 s10, exec_lo
	s_wait_loadcnt 0x0
	v_or_b32_e32 v16, v20, v16
	s_delay_alu instid0(VALU_DEP_1) | instskip(NEXT) | instid1(VALU_DEP_1)
	v_lshl_or_b32 v16, v16, v18, v17
	v_mul_lo_u32 v16, 0x5bd1e995, v16
	s_delay_alu instid0(VALU_DEP_1) | instskip(NEXT) | instid1(VALU_DEP_1)
	v_lshrrev_b32_e32 v17, 24, v16
	v_xor_b32_e32 v16, v17, v16
	v_mul_lo_u32 v17, 0x5bd1e995, v14
	s_delay_alu instid0(VALU_DEP_2) | instskip(NEXT) | instid1(VALU_DEP_1)
	v_mul_lo_u32 v16, 0x5bd1e995, v16
	v_dual_sub_nc_u32 v18, v19, v44 :: v_dual_bitop2_b32 v16, v16, v17 bitop3:0x14
                                        ; implicit-def: $vgpr17
	s_wait_xcnt 0x0
	s_delay_alu instid0(VALU_DEP_1)
	v_cmpx_lt_i32_e32 1, v18
	s_xor_b32 s10, exec_lo, s10
	s_cbranch_execnz .LBB2_685
; %bb.634:                              ;   in Loop: Header=BB2_577 Depth=2
	s_and_not1_saveexec_b32 s10, s10
	s_cbranch_execnz .LBB2_688
.LBB2_635:                              ;   in Loop: Header=BB2_577 Depth=2
	s_or_b32 exec_lo, exec_lo, s10
	s_and_saveexec_b32 s10, s3
	s_cbranch_execz .LBB2_637
.LBB2_636:                              ;   in Loop: Header=BB2_577 Depth=2
	global_load_u8 v8, v[8:9], off offset:4
	s_wait_loadcnt 0x0
	v_xor_b32_e32 v8, v17, v8
	s_delay_alu instid0(VALU_DEP_1)
	v_mul_lo_u32 v16, 0x5bd1e995, v8
.LBB2_637:                              ;   in Loop: Header=BB2_577 Depth=2
	s_or_b32 exec_lo, exec_lo, s10
                                        ; implicit-def: $vgpr17
                                        ; implicit-def: $vgpr18
                                        ; implicit-def: $vgpr8_vgpr9
.LBB2_638:                              ;   in Loop: Header=BB2_577 Depth=2
	s_and_not1_saveexec_b32 s1, s1
	s_cbranch_execz .LBB2_678
; %bb.639:                              ;   in Loop: Header=BB2_577 Depth=2
	s_mov_b32 s3, 0
	s_mov_b32 s10, exec_lo
                                        ; implicit-def: $vgpr16
	v_cmpx_lt_i32_e32 5, v15
	s_xor_b32 s10, exec_lo, s10
	s_cbranch_execnz .LBB2_689
; %bb.640:                              ;   in Loop: Header=BB2_577 Depth=2
	s_and_not1_saveexec_b32 s10, s10
	s_cbranch_execnz .LBB2_690
.LBB2_641:                              ;   in Loop: Header=BB2_577 Depth=2
	s_or_b32 exec_lo, exec_lo, s10
	v_mov_b32_e32 v8, 0
	s_and_saveexec_b32 s10, s3
	s_cbranch_execz .LBB2_643
.LBB2_642:                              ;   in Loop: Header=BB2_577 Depth=2
	global_load_u8 v6, v[6:7], off
	s_wait_loadcnt 0x0
	v_or_b32_e32 v8, v16, v6
.LBB2_643:                              ;   in Loop: Header=BB2_577 Depth=2
	s_wait_xcnt 0x0
	s_or_b32 exec_lo, exec_lo, s10
	s_delay_alu instid0(VALU_DEP_1) | instskip(NEXT) | instid1(VALU_DEP_1)
	v_dual_lshrrev_b32 v6, v17, v13 :: v_dual_lshlrev_b32 v7, v18, v8
	v_bitop3_b32 v6, v7, v14, v6 bitop3:0x36
	s_delay_alu instid0(VALU_DEP_1)
	v_mul_lo_u32 v16, 0x5bd1e995, v6
	s_or_b32 exec_lo, exec_lo, s1
.LBB2_644:                              ;   in Loop: Header=BB2_577 Depth=2
	s_and_not1_saveexec_b32 s0, s0
	s_cbranch_execz .LBB2_652
.LBB2_645:                              ;   in Loop: Header=BB2_577 Depth=2
	v_mov_b64_e32 v[6:7], v[2:3]
	v_dual_mov_b32 v8, v11 :: v_dual_mov_b32 v16, v10
	s_mov_b32 s1, 0
.LBB2_646:                              ;   Parent Loop BB2_13 Depth=1
                                        ;     Parent Loop BB2_577 Depth=2
                                        ; =>    This Inner Loop Header: Depth=3
	global_load_b32 v9, v[6:7], off
	s_wait_xcnt 0x0
	v_add_nc_u64_e32 v[6:7], 4, v[6:7]
	v_add_nc_u32_e32 v8, -4, v8
	s_delay_alu instid0(VALU_DEP_1) | instskip(SKIP_3) | instid1(VALU_DEP_1)
	v_cmp_gt_u32_e32 vcc_lo, 8, v8
	s_or_b32 s1, vcc_lo, s1
	s_wait_loadcnt 0x0
	v_mul_lo_u32 v9, 0x5bd1e995, v9
	v_lshrrev_b32_e32 v13, 24, v9
	s_delay_alu instid0(VALU_DEP_1) | instskip(SKIP_1) | instid1(VALU_DEP_2)
	v_xor_b32_e32 v9, v13, v9
	v_mul_lo_u32 v13, 0x5bd1e995, v16
	v_mul_lo_u32 v9, 0x5bd1e995, v9
	s_delay_alu instid0(VALU_DEP_1)
	v_xor_b32_e32 v16, v9, v13
	s_and_not1_b32 exec_lo, exec_lo, s1
	s_cbranch_execnz .LBB2_646
; %bb.647:                              ;   in Loop: Header=BB2_577 Depth=2
	s_or_b32 exec_lo, exec_lo, s1
	s_mov_b32 s1, 0
	s_mov_b32 s3, exec_lo
                                        ; implicit-def: $vgpr9
	v_cmpx_lt_i32_e32 5, v8
	s_xor_b32 s3, exec_lo, s3
	s_cbranch_execnz .LBB2_679
; %bb.648:                              ;   in Loop: Header=BB2_577 Depth=2
	s_and_not1_saveexec_b32 s3, s3
	s_cbranch_execnz .LBB2_682
.LBB2_649:                              ;   in Loop: Header=BB2_577 Depth=2
	s_or_b32 exec_lo, exec_lo, s3
	s_and_saveexec_b32 s3, s1
	s_cbranch_execz .LBB2_651
.LBB2_650:                              ;   in Loop: Header=BB2_577 Depth=2
	global_load_u8 v6, v[6:7], off
	s_wait_loadcnt 0x0
	v_xor_b32_e32 v6, v9, v6
	s_delay_alu instid0(VALU_DEP_1)
	v_mul_lo_u32 v16, 0x5bd1e995, v6
.LBB2_651:                              ;   in Loop: Header=BB2_577 Depth=2
	s_or_b32 exec_lo, exec_lo, s3
.LBB2_652:                              ;   in Loop: Header=BB2_577 Depth=2
	s_delay_alu instid0(SALU_CYCLE_1) | instskip(NEXT) | instid1(VALU_DEP_1)
	s_or_b32 exec_lo, exec_lo, s0
	v_lshrrev_b32_e32 v6, 13, v16
	s_mov_b32 s0, 0
	s_mov_b32 s3, exec_lo
	v_mov_b32_e32 v14, 0x58
	s_delay_alu instid0(VALU_DEP_2) | instskip(NEXT) | instid1(VALU_DEP_1)
	v_xor_b32_e32 v6, v6, v16
	v_mul_lo_u32 v6, 0x5bd1e995, v6
	s_delay_alu instid0(VALU_DEP_1) | instskip(NEXT) | instid1(VALU_DEP_1)
	v_lshrrev_b32_e32 v7, 15, v6
	v_xor_b32_e32 v44, v7, v6
	s_delay_alu instid0(VALU_DEP_1) | instskip(NEXT) | instid1(VALU_DEP_1)
	v_mul_u64_e32 v[6:7], v[44:45], v[84:85]
	v_mul_lo_u32 v6, v7, v42
	s_delay_alu instid0(VALU_DEP_1) | instskip(NEXT) | instid1(VALU_DEP_1)
	v_sub_nc_u32_e32 v6, v44, v6
	v_sub_nc_u32_e32 v7, v6, v42
	v_cmp_ge_u32_e32 vcc_lo, v6, v42
	s_delay_alu instid0(VALU_DEP_2) | instskip(NEXT) | instid1(VALU_DEP_1)
	v_cndmask_b32_e32 v6, v6, v7, vcc_lo
	v_sub_nc_u32_e32 v7, v6, v42
	v_cmp_ge_u32_e32 vcc_lo, v6, v42
	s_delay_alu instid0(VALU_DEP_2) | instskip(NEXT) | instid1(VALU_DEP_1)
	v_cndmask_b32_e32 v13, v6, v7, vcc_lo
	v_mad_nc_u64_u32 v[8:9], v13, 56, v[40:41]
	global_load_b32 v15, v[8:9], off offset:8
	s_wait_loadcnt 0x0
	v_cmpx_ne_u32_e32 -1, v15
	s_cbranch_execz .LBB2_575
; %bb.653:                              ;   in Loop: Header=BB2_577 Depth=2
	s_mov_b32 s11, 0
                                        ; implicit-def: $sgpr10
                                        ; implicit-def: $sgpr12
	s_branch .LBB2_655
.LBB2_654:                              ;   in Loop: Header=BB2_655 Depth=3
	s_wait_xcnt 0x0
	s_or_b32 exec_lo, exec_lo, s1
	s_delay_alu instid0(SALU_CYCLE_1) | instskip(NEXT) | instid1(SALU_CYCLE_1)
	s_and_b32 s0, exec_lo, s0
	s_or_b32 s11, s0, s11
	s_and_not1_b32 s0, s10, exec_lo
	s_and_b32 s1, s12, exec_lo
	s_delay_alu instid0(SALU_CYCLE_1)
	s_or_b32 s10, s0, s1
	s_and_not1_b32 exec_lo, exec_lo, s11
	s_cbranch_execz .LBB2_668
.LBB2_655:                              ;   Parent Loop BB2_13 Depth=1
                                        ;     Parent Loop BB2_577 Depth=2
                                        ; =>    This Loop Header: Depth=3
                                        ;         Child Loop BB2_657 Depth 4
	v_mov_b64_e32 v[6:7], v[8:9]
	global_load_b64 v[8:9], v[8:9], off
	s_mov_b64 s[0:1], 0
	s_mov_b32 s14, 0
                                        ; implicit-def: $sgpr13
                                        ; implicit-def: $sgpr16
                                        ; implicit-def: $sgpr15
	s_branch .LBB2_657
.LBB2_656:                              ;   in Loop: Header=BB2_657 Depth=4
	s_or_b32 exec_lo, exec_lo, s17
	s_xor_b32 s17, s15, -1
	s_and_b32 s18, exec_lo, s16
	s_delay_alu instid0(SALU_CYCLE_1) | instskip(SKIP_2) | instid1(SALU_CYCLE_1)
	s_or_b32 s14, s18, s14
	s_and_not1_b32 s13, s13, exec_lo
	s_and_b32 s17, s17, exec_lo
	s_or_b32 s13, s13, s17
	s_and_not1_b32 exec_lo, exec_lo, s14
	s_cbranch_execz .LBB2_659
.LBB2_657:                              ;   Parent Loop BB2_13 Depth=1
                                        ;     Parent Loop BB2_577 Depth=2
                                        ;       Parent Loop BB2_655 Depth=3
                                        ; =>      This Inner Loop Header: Depth=4
	s_wait_loadcnt 0x0
	v_add_nc_u64_e32 v[16:17], s[0:1], v[8:9]
	v_add_nc_u64_e32 v[18:19], s[0:1], v[2:3]
	s_or_b32 s15, s15, exec_lo
	s_or_b32 s16, s16, exec_lo
	s_mov_b32 s17, exec_lo
	flat_load_u8 v14, v[16:17]
	global_load_u8 v16, v[18:19], off
	s_wait_loadcnt_dscnt 0x0
	v_cmpx_eq_u16_e64 v14, v16
	s_cbranch_execz .LBB2_656
; %bb.658:                              ;   in Loop: Header=BB2_657 Depth=4
	s_add_nc_u64 s[0:1], s[0:1], 1
	s_and_not1_b32 s16, s16, exec_lo
	v_cmp_eq_u32_e32 vcc_lo, s0, v4
	s_and_not1_b32 s15, s15, exec_lo
	s_and_b32 s18, vcc_lo, exec_lo
	s_delay_alu instid0(SALU_CYCLE_1)
	s_or_b32 s16, s16, s18
	s_branch .LBB2_656
.LBB2_659:                              ;   in Loop: Header=BB2_655 Depth=3
	s_or_b32 exec_lo, exec_lo, s14
	s_mov_b32 s0, -1
	s_mov_b32 s14, -1
	s_and_saveexec_b32 s1, s13
	s_delay_alu instid0(SALU_CYCLE_1)
	s_xor_b32 s1, exec_lo, s1
; %bb.660:                              ;   in Loop: Header=BB2_655 Depth=3
	v_cmp_ne_u32_e32 vcc_lo, v15, v4
	s_or_not1_b32 s14, vcc_lo, exec_lo
; %bb.661:                              ;   in Loop: Header=BB2_655 Depth=3
	s_or_b32 exec_lo, exec_lo, s1
	s_delay_alu instid0(SALU_CYCLE_1)
	s_or_b32 s12, s12, exec_lo
                                        ; implicit-def: $vgpr8_vgpr9
                                        ; implicit-def: $vgpr15
	s_and_saveexec_b32 s1, s14
	s_cbranch_execz .LBB2_654
; %bb.662:                              ;   in Loop: Header=BB2_655 Depth=3
	v_add_nc_u32_e32 v8, 1, v13
	s_and_not1_b32 s12, s12, exec_lo
	s_delay_alu instid0(VALU_DEP_1) | instskip(SKIP_1) | instid1(VALU_DEP_1)
	v_cmp_ne_u32_e32 vcc_lo, v8, v42
	v_cndmask_b32_e32 v13, 0, v8, vcc_lo
	v_mad_nc_u64_u32 v[8:9], v13, 56, v[40:41]
	global_load_b32 v15, v[8:9], off offset:8
	s_wait_loadcnt 0x0
	v_cmp_eq_u32_e32 vcc_lo, -1, v15
	s_or_not1_b32 s0, vcc_lo, exec_lo
	s_branch .LBB2_654
.LBB2_663:                              ;   in Loop: Header=BB2_577 Depth=2
	s_or_b32 exec_lo, exec_lo, s2
	s_and_not1_saveexec_b32 s1, s1
	s_cbranch_execnz .LBB2_601
	s_branch .LBB2_608
.LBB2_664:                              ;   in Loop: Header=BB2_577 Depth=2
	v_mov_b32_e32 v9, v16
	s_mov_b32 s2, exec_lo
	v_cmpx_lt_i32_e32 6, v8
	s_cbranch_execz .LBB2_666
; %bb.665:                              ;   in Loop: Header=BB2_577 Depth=2
	global_load_u8 v9, v[6:7], off offset:2
	s_wait_loadcnt 0x0
	v_lshlrev_b32_e32 v9, 16, v9
	s_delay_alu instid0(VALU_DEP_1)
	v_xor_b32_e32 v9, v9, v16
.LBB2_666:                              ;   in Loop: Header=BB2_577 Depth=2
	s_wait_xcnt 0x0
	s_or_b32 exec_lo, exec_lo, s2
	global_load_u8 v13, v[6:7], off offset:1
	s_mov_b32 s2, exec_lo
	s_wait_loadcnt 0x0
	v_lshlrev_b32_e32 v13, 8, v13
	s_delay_alu instid0(VALU_DEP_1)
	v_xor_b32_e32 v9, v13, v9
	s_wait_xcnt 0x0
	s_and_not1_saveexec_b32 s3, s3
	s_cbranch_execz .LBB2_605
.LBB2_667:                              ;   in Loop: Header=BB2_577 Depth=2
	v_cmp_eq_u32_e64 s0, 5, v8
	v_mov_b32_e32 v9, v16
	s_and_not1_b32 s2, s2, exec_lo
	s_and_b32 s0, s0, exec_lo
	s_delay_alu instid0(SALU_CYCLE_1)
	s_or_b32 s2, s2, s0
	s_or_b32 exec_lo, exec_lo, s3
	s_and_saveexec_b32 s0, s2
	s_cbranch_execnz .LBB2_606
	s_branch .LBB2_607
.LBB2_668:                              ;   in Loop: Header=BB2_577 Depth=2
	s_or_b32 exec_lo, exec_lo, s11
	v_mov_b32_e32 v14, 0x58
	s_mov_b32 s0, 0
	s_and_saveexec_b32 s1, s10
	s_delay_alu instid0(SALU_CYCLE_1)
	s_xor_b32 s10, exec_lo, s1
	s_cbranch_execz .LBB2_574
; %bb.669:                              ;   in Loop: Header=BB2_577 Depth=2
	global_load_u8 v14, v[6:7], off offset:48
	s_mov_b32 s11, 0
	s_mov_b32 s12, exec_lo
	s_wait_loadcnt 0x0
	v_cmp_ne_u16_e64 s0, 0x58, v14
	v_cmp_ne_u16_e32 vcc_lo, 0x46, v14
	s_wait_xcnt 0x0
	v_cmpx_lt_i16_e32 0x57, v14
	s_xor_b32 s12, exec_lo, s12
	s_cbranch_execnz .LBB2_691
; %bb.670:                              ;   in Loop: Header=BB2_577 Depth=2
	s_and_not1_saveexec_b32 s12, s12
	s_cbranch_execnz .LBB2_692
.LBB2_671:                              ;   in Loop: Header=BB2_577 Depth=2
	s_or_b32 exec_lo, exec_lo, s12
	s_and_saveexec_b32 s12, s11
	s_cbranch_execz .LBB2_573
	s_branch .LBB2_693
.LBB2_672:                              ;   in Loop: Header=BB2_577 Depth=2
	global_load_u8 v16, v[8:9], off offset:6
	s_mov_b32 s3, exec_lo
	s_wait_loadcnt 0x0
	v_lshlrev_b32_e32 v16, 16, v16
	s_wait_xcnt 0x0
	s_and_not1_saveexec_b32 s10, s0
	s_cbranch_execz .LBB2_587
.LBB2_673:                              ;   in Loop: Header=BB2_577 Depth=2
	v_cmp_eq_u32_e64 s0, 2, v44
	v_mov_b32_e32 v16, 0
	s_and_not1_b32 s3, s3, exec_lo
	s_and_b32 s0, s0, exec_lo
	s_delay_alu instid0(SALU_CYCLE_1)
	s_or_b32 s3, s3, s0
	s_or_b32 exec_lo, exec_lo, s10
	v_mov_b32_e32 v20, 0
	s_and_saveexec_b32 s0, s3
	s_cbranch_execnz .LBB2_588
	s_branch .LBB2_589
.LBB2_674:                              ;   in Loop: Header=BB2_577 Depth=2
	global_load_u8 v17, v[8:9], off offset:5
	s_mov_b32 s3, exec_lo
                                        ; implicit-def: $vgpr18
	s_wait_loadcnt 0x0
	v_lshlrev_b32_e32 v17, 8, v17
	s_delay_alu instid0(VALU_DEP_1)
	v_xor_b32_e32 v17, v17, v16
	s_wait_xcnt 0x0
	s_and_not1_saveexec_b32 s10, s0
	s_cbranch_execz .LBB2_591
.LBB2_675:                              ;   in Loop: Header=BB2_577 Depth=2
	v_cmp_eq_u32_e64 s0, 1, v18
	v_mov_b32_e32 v17, v16
	s_and_not1_b32 s3, s3, exec_lo
	s_and_b32 s0, s0, exec_lo
	s_delay_alu instid0(SALU_CYCLE_1)
	s_or_b32 s3, s3, s0
	s_or_b32 exec_lo, exec_lo, s10
	s_and_saveexec_b32 s0, s3
	s_cbranch_execnz .LBB2_592
	s_branch .LBB2_593
.LBB2_676:                              ;   in Loop: Header=BB2_577 Depth=2
	global_load_u8 v8, v[8:9], off offset:5
	s_mov_b32 s3, exec_lo
	s_wait_loadcnt 0x0
	v_lshlrev_b32_e32 v16, 8, v8
	s_wait_xcnt 0x0
	s_and_not1_saveexec_b32 s10, s0
	s_cbranch_execz .LBB2_597
.LBB2_677:                              ;   in Loop: Header=BB2_577 Depth=2
	v_cmp_eq_u32_e64 s0, 5, v15
	v_mov_b32_e32 v16, 0
	s_and_not1_b32 s3, s3, exec_lo
	s_and_b32 s0, s0, exec_lo
	s_delay_alu instid0(SALU_CYCLE_1)
	s_or_b32 s3, s3, s0
	s_or_b32 exec_lo, exec_lo, s10
	v_mov_b32_e32 v8, 0
	s_and_saveexec_b32 s0, s3
	s_cbranch_execnz .LBB2_598
	s_branch .LBB2_599
.LBB2_678:                              ;   in Loop: Header=BB2_577 Depth=2
	s_or_b32 exec_lo, exec_lo, s1
	s_and_not1_saveexec_b32 s0, s0
	s_cbranch_execnz .LBB2_645
	s_branch .LBB2_652
.LBB2_679:                              ;   in Loop: Header=BB2_577 Depth=2
	v_mov_b32_e32 v9, v16
	s_mov_b32 s1, exec_lo
	v_cmpx_lt_i32_e32 6, v8
	s_cbranch_execz .LBB2_681
; %bb.680:                              ;   in Loop: Header=BB2_577 Depth=2
	global_load_u8 v9, v[6:7], off offset:2
	s_wait_loadcnt 0x0
	v_lshlrev_b32_e32 v9, 16, v9
	s_delay_alu instid0(VALU_DEP_1)
	v_xor_b32_e32 v9, v9, v16
.LBB2_681:                              ;   in Loop: Header=BB2_577 Depth=2
	s_wait_xcnt 0x0
	s_or_b32 exec_lo, exec_lo, s1
	global_load_u8 v13, v[6:7], off offset:1
	s_mov_b32 s1, exec_lo
	s_wait_loadcnt 0x0
	v_lshlrev_b32_e32 v13, 8, v13
	s_delay_alu instid0(VALU_DEP_1)
	v_xor_b32_e32 v9, v13, v9
	s_wait_xcnt 0x0
	s_and_not1_saveexec_b32 s3, s3
	s_cbranch_execz .LBB2_649
.LBB2_682:                              ;   in Loop: Header=BB2_577 Depth=2
	v_cmp_eq_u32_e32 vcc_lo, 5, v8
	v_mov_b32_e32 v9, v16
	s_and_not1_b32 s1, s1, exec_lo
	s_and_b32 s10, vcc_lo, exec_lo
	s_delay_alu instid0(SALU_CYCLE_1)
	s_or_b32 s1, s1, s10
	s_or_b32 exec_lo, exec_lo, s3
	s_and_saveexec_b32 s3, s1
	s_cbranch_execnz .LBB2_650
	s_branch .LBB2_651
.LBB2_683:                              ;   in Loop: Header=BB2_577 Depth=2
	global_load_u8 v16, v[8:9], off offset:6
	s_mov_b32 s3, exec_lo
	s_wait_loadcnt 0x0
	v_lshlrev_b32_e32 v16, 16, v16
	s_wait_xcnt 0x0
	s_and_not1_saveexec_b32 s10, s10
	s_cbranch_execz .LBB2_631
.LBB2_684:                              ;   in Loop: Header=BB2_577 Depth=2
	v_cmp_eq_u32_e32 vcc_lo, 2, v44
	v_mov_b32_e32 v16, 0
	s_and_not1_b32 s3, s3, exec_lo
	s_and_b32 s11, vcc_lo, exec_lo
	s_delay_alu instid0(SALU_CYCLE_1)
	s_or_b32 s3, s3, s11
	s_or_b32 exec_lo, exec_lo, s10
	v_mov_b32_e32 v20, 0
	s_and_saveexec_b32 s10, s3
	s_cbranch_execnz .LBB2_632
	s_branch .LBB2_633
.LBB2_685:                              ;   in Loop: Header=BB2_577 Depth=2
	s_mov_b32 s11, exec_lo
                                        ; implicit-def: $vgpr17
	v_cmpx_eq_u32_e32 2, v18
	s_cbranch_execz .LBB2_687
; %bb.686:                              ;   in Loop: Header=BB2_577 Depth=2
	global_load_u8 v17, v[8:9], off offset:5
	s_mov_b32 s3, exec_lo
	s_wait_loadcnt 0x0
	v_lshlrev_b32_e32 v17, 8, v17
	s_delay_alu instid0(VALU_DEP_1)
	v_xor_b32_e32 v17, v17, v16
.LBB2_687:                              ;   in Loop: Header=BB2_577 Depth=2
	s_wait_xcnt 0x0
	s_or_b32 exec_lo, exec_lo, s11
	s_delay_alu instid0(SALU_CYCLE_1)
	s_and_b32 s3, s3, exec_lo
                                        ; implicit-def: $vgpr18
	s_and_not1_saveexec_b32 s10, s10
	s_cbranch_execz .LBB2_635
.LBB2_688:                              ;   in Loop: Header=BB2_577 Depth=2
	v_cmp_eq_u32_e32 vcc_lo, 1, v18
	v_mov_b32_e32 v17, v16
	s_and_not1_b32 s3, s3, exec_lo
	s_and_b32 s11, vcc_lo, exec_lo
	s_delay_alu instid0(SALU_CYCLE_1)
	s_or_b32 s3, s3, s11
	s_or_b32 exec_lo, exec_lo, s10
	s_and_saveexec_b32 s10, s3
	s_cbranch_execnz .LBB2_636
	s_branch .LBB2_637
.LBB2_689:                              ;   in Loop: Header=BB2_577 Depth=2
	global_load_u8 v8, v[8:9], off offset:5
	s_mov_b32 s3, exec_lo
	s_wait_loadcnt 0x0
	v_lshlrev_b32_e32 v16, 8, v8
	s_wait_xcnt 0x0
	s_and_not1_saveexec_b32 s10, s10
	s_cbranch_execz .LBB2_641
.LBB2_690:                              ;   in Loop: Header=BB2_577 Depth=2
	v_cmp_eq_u32_e32 vcc_lo, 5, v15
	v_mov_b32_e32 v16, 0
	s_and_not1_b32 s3, s3, exec_lo
	s_and_b32 s11, vcc_lo, exec_lo
	s_delay_alu instid0(SALU_CYCLE_1)
	s_or_b32 s3, s3, s11
	s_or_b32 exec_lo, exec_lo, s10
	v_mov_b32_e32 v8, 0
	s_and_saveexec_b32 s10, s3
	s_cbranch_execnz .LBB2_642
	s_branch .LBB2_643
.LBB2_691:                              ;   in Loop: Header=BB2_577 Depth=2
	v_cmp_ne_u16_e64 s1, 0x58, v14
	s_and_b32 s11, s1, exec_lo
	s_and_not1_saveexec_b32 s12, s12
	s_cbranch_execz .LBB2_671
.LBB2_692:                              ;   in Loop: Header=BB2_577 Depth=2
	v_cmp_ne_u16_e64 s1, 0x46, v14
	s_and_not1_b32 s11, s11, exec_lo
	s_and_b32 s1, s1, exec_lo
	s_delay_alu instid0(SALU_CYCLE_1)
	s_or_b32 s11, s11, s1
	s_or_b32 exec_lo, exec_lo, s12
	s_and_saveexec_b32 s12, s11
	s_cbranch_execz .LBB2_573
.LBB2_693:                              ;   in Loop: Header=BB2_577 Depth=2
	v_add_nc_u64_e32 v[6:7], v[2:3], v[0:1]
	v_cmp_ne_u16_e64 s1, 0, v14
	v_add_nc_u64_e32 v[2:3], 1, v[2:3]
	s_delay_alu instid0(VALU_DEP_2)
	v_add_co_ci_u32_e64 v5, null, 0, v5, s1
	global_store_b8 v[6:7], v14, off
	s_wait_xcnt 0x0
	v_mov_b32_e32 v14, v12
	s_branch .LBB2_573
.LBB2_694:                              ;   in Loop: Header=BB2_13 Depth=1
	s_or_b32 exec_lo, exec_lo, s6
	v_and_b32_e32 v2, 0xff, v14
	s_delay_alu instid0(VALU_DEP_1)
	v_cmp_eq_u16_e64 s2, 0x58, v2
	s_mov_b32 s3, exec_lo
	v_cmpx_gt_i32_e64 v5, v107
	s_cbranch_execnz .LBB2_696
	s_branch .LBB2_700
.LBB2_695:                              ;   in Loop: Header=BB2_13 Depth=1
	v_mov_b32_e32 v5, 0
	s_mov_b32 s2, -1
	s_mov_b32 s3, exec_lo
	s_delay_alu instid0(VALU_DEP_1)
	v_cmpx_gt_i32_e64 v5, v107
	s_cbranch_execz .LBB2_700
.LBB2_696:                              ;   in Loop: Header=BB2_13 Depth=1
	s_mov_b32 s6, exec_lo
	v_cmpx_lt_i32_e32 0, v5
	s_cbranch_execz .LBB2_699
; %bb.697:                              ;   in Loop: Header=BB2_13 Depth=1
	v_add_nc_u64_e32 v[0:1], v[66:67], v[0:1]
	s_mov_b64 s[0:1], 0
	s_mov_b32 s7, 0
.LBB2_698:                              ;   Parent Loop BB2_13 Depth=1
                                        ; =>  This Inner Loop Header: Depth=2
	s_delay_alu instid0(VALU_DEP_1) | instskip(SKIP_4) | instid1(SALU_CYCLE_1)
	v_add_nc_u64_e32 v[2:3], s[0:1], v[0:1]
	global_load_u8 v6, v[2:3], off
	s_wait_xcnt 0x0
	v_add_nc_u64_e32 v[2:3], s[0:1], v[68:69]
	s_add_nc_u64 s[0:1], s[0:1], 1
	v_cmp_eq_u32_e32 vcc_lo, s0, v5
	s_or_b32 s7, vcc_lo, s7
	s_wait_loadcnt 0x0
	global_store_b8 v[2:3], v6, off
	s_wait_xcnt 0x0
	s_and_not1_b32 exec_lo, exec_lo, s7
	s_cbranch_execnz .LBB2_698
.LBB2_699:                              ;   in Loop: Header=BB2_13 Depth=1
	s_or_b32 exec_lo, exec_lo, s6
	v_mov_b32_e32 v107, v5
.LBB2_700:                              ;   in Loop: Header=BB2_13 Depth=1
	s_or_b32 exec_lo, exec_lo, s3
	s_xor_b32 s1, s2, -1
	s_mov_b32 s0, 0
	s_and_saveexec_b32 s2, s1
	s_delay_alu instid0(SALU_CYCLE_1)
	s_xor_b32 s1, exec_lo, s2
; %bb.701:                              ;   in Loop: Header=BB2_13 Depth=1
	v_cmp_ne_u32_e32 vcc_lo, -8, v105
                                        ; implicit-def: $vgpr105
	s_and_b32 s0, vcc_lo, exec_lo
; %bb.702:                              ;   in Loop: Header=BB2_13 Depth=1
	s_or_saveexec_b32 s1, s1
	v_dual_mov_b32 v3, -8 :: v_dual_mov_b32 v1, 8
	s_xor_b32 exec_lo, exec_lo, s1
; %bb.703:                              ;   in Loop: Header=BB2_13 Depth=1
	v_cmp_ne_u32_e32 vcc_lo, 8, v105
	v_dual_mov_b32 v3, 8 :: v_dual_mov_b32 v1, -8
	s_and_not1_b32 s0, s0, exec_lo
	s_and_b32 s2, vcc_lo, exec_lo
	s_delay_alu instid0(SALU_CYCLE_1)
	s_or_b32 s0, s0, s2
; %bb.704:                              ;   in Loop: Header=BB2_13 Depth=1
	s_or_b32 exec_lo, exec_lo, s1
	v_dual_mov_b32 v2, 11 :: v_dual_mov_b32 v0, 0
	v_mov_b32_e32 v105, v3
	s_and_saveexec_b32 s1, s0
; %bb.705:                              ;   in Loop: Header=BB2_13 Depth=1
	v_dual_mov_b32 v2, 0 :: v_dual_mov_b32 v0, v106
	v_mov_b32_e32 v105, v1
; %bb.706:                              ;   in Loop: Header=BB2_13 Depth=1
	s_or_b32 exec_lo, exec_lo, s1
	s_mov_b32 s0, -1
	s_mov_b32 s1, exec_lo
	v_cmpx_gt_i32_e32 11, v2
; %bb.707:                              ;   in Loop: Header=BB2_13 Depth=1
	v_cmp_eq_u32_e32 vcc_lo, 0, v2
	s_or_not1_b32 s0, vcc_lo, exec_lo
; %bb.708:                              ;   in Loop: Header=BB2_13 Depth=1
	s_or_b32 exec_lo, exec_lo, s1
	v_mov_b32_e32 v106, v0
	s_or_not1_b32 s0, s0, exec_lo
.LBB2_709:                              ;   in Loop: Header=BB2_13 Depth=1
	s_or_b32 exec_lo, exec_lo, s5
	s_and_saveexec_b32 s1, s0
	s_cbranch_execz .LBB2_12
; %bb.710:                              ;   in Loop: Header=BB2_13 Depth=1
	ds_bpermute_b32 v106, v45, v106
	s_mov_b32 s0, -1
	s_mov_b32 s2, exec_lo
	s_wait_dscnt 0x0
	v_cmpx_ne_u32_e32 0, v106
	s_cbranch_execz .LBB2_11
; %bb.711:                              ;   in Loop: Header=BB2_13 Depth=1
	ds_bpermute_b32 v105, v45, v105
	s_wait_dscnt 0x0
	v_add_nc_u32_e32 v4, v105, v4
	s_delay_alu instid0(VALU_DEP_1) | instskip(SKIP_2) | instid1(SALU_CYCLE_1)
	v_cmp_gt_i32_e32 vcc_lo, 21, v4
	v_cmp_gt_i32_e64 s0, v4, v59
	s_or_b32 s0, vcc_lo, s0
	s_or_not1_b32 s0, s0, exec_lo
	s_branch .LBB2_11
.LBB2_712:
	s_or_b32 exec_lo, exec_lo, s65
	v_max_i32_e32 v4, 0, v107
.LBB2_713:
	s_or_b32 exec_lo, exec_lo, s37
	v_cmp_eq_u32_e32 vcc_lo, 0, v72
	s_and_b32 exec_lo, exec_lo, vcc_lo
	s_cbranch_execz .LBB2_715
; %bb.714:
	s_wait_kmcnt 0x0
	global_store_b32 v58, v4, s[54:55] scale_offset
.LBB2_715:
	s_endpgm
	.section	.rodata,"a",@progbits
	.p2align	6, 0x0
	.amdhsa_kernel _Z22iterative_walks_kernelILi64EEvPjS0_PcS1_S1_S0_S0_PdP6loc_htS0_P11loc_ht_boolijS0_llliijS1_S1_S0_i
		.amdhsa_group_segment_fixed_size 16384
		.amdhsa_private_segment_fixed_size 80
		.amdhsa_kernarg_size 432
		.amdhsa_user_sgpr_count 4
		.amdhsa_user_sgpr_dispatch_ptr 1
		.amdhsa_user_sgpr_queue_ptr 0
		.amdhsa_user_sgpr_kernarg_segment_ptr 1
		.amdhsa_user_sgpr_dispatch_id 0
		.amdhsa_user_sgpr_kernarg_preload_length 0
		.amdhsa_user_sgpr_kernarg_preload_offset 0
		.amdhsa_user_sgpr_private_segment_size 0
		.amdhsa_wavefront_size32 1
		.amdhsa_uses_dynamic_stack 0
		.amdhsa_enable_private_segment 1
		.amdhsa_system_sgpr_workgroup_id_x 1
		.amdhsa_system_sgpr_workgroup_id_y 0
		.amdhsa_system_sgpr_workgroup_id_z 0
		.amdhsa_system_sgpr_workgroup_info 0
		.amdhsa_system_vgpr_workitem_id 2
		.amdhsa_next_free_vgpr 109
		.amdhsa_next_free_sgpr 72
		.amdhsa_named_barrier_count 0
		.amdhsa_reserve_vcc 1
		.amdhsa_float_round_mode_32 0
		.amdhsa_float_round_mode_16_64 0
		.amdhsa_float_denorm_mode_32 3
		.amdhsa_float_denorm_mode_16_64 3
		.amdhsa_fp16_overflow 0
		.amdhsa_memory_ordered 1
		.amdhsa_forward_progress 1
		.amdhsa_inst_pref_size 188
		.amdhsa_round_robin_scheduling 0
		.amdhsa_exception_fp_ieee_invalid_op 0
		.amdhsa_exception_fp_denorm_src 0
		.amdhsa_exception_fp_ieee_div_zero 0
		.amdhsa_exception_fp_ieee_overflow 0
		.amdhsa_exception_fp_ieee_underflow 0
		.amdhsa_exception_fp_ieee_inexact 0
		.amdhsa_exception_int_div_zero 0
	.end_amdhsa_kernel
	.section	.text._Z22iterative_walks_kernelILi64EEvPjS0_PcS1_S1_S0_S0_PdP6loc_htS0_P11loc_ht_boolijS0_llliijS1_S1_S0_i,"axG",@progbits,_Z22iterative_walks_kernelILi64EEvPjS0_PcS1_S1_S0_S0_PdP6loc_htS0_P11loc_ht_boolijS0_llliijS1_S1_S0_i,comdat
.Lfunc_end2:
	.size	_Z22iterative_walks_kernelILi64EEvPjS0_PcS1_S1_S0_S0_PdP6loc_htS0_P11loc_ht_boolijS0_llliijS1_S1_S0_i, .Lfunc_end2-_Z22iterative_walks_kernelILi64EEvPjS0_PcS1_S1_S0_S0_PdP6loc_htS0_P11loc_ht_boolijS0_llliijS1_S1_S0_i
                                        ; -- End function
	.set _Z22iterative_walks_kernelILi64EEvPjS0_PcS1_S1_S0_S0_PdP6loc_htS0_P11loc_ht_boolijS0_llliijS1_S1_S0_i.num_vgpr, max(109, .L_Z13ht_get_atomicP6loc_ht9cstr_typej.num_vgpr)
	.set _Z22iterative_walks_kernelILi64EEvPjS0_PcS1_S1_S0_S0_PdP6loc_htS0_P11loc_ht_boolijS0_llliijS1_S1_S0_i.num_agpr, max(0, .L_Z13ht_get_atomicP6loc_ht9cstr_typej.num_agpr)
	.set _Z22iterative_walks_kernelILi64EEvPjS0_PcS1_S1_S0_S0_PdP6loc_htS0_P11loc_ht_boolijS0_llliijS1_S1_S0_i.numbered_sgpr, max(72, .L_Z13ht_get_atomicP6loc_ht9cstr_typej.numbered_sgpr)
	.set _Z22iterative_walks_kernelILi64EEvPjS0_PcS1_S1_S0_S0_PdP6loc_htS0_P11loc_ht_boolijS0_llliijS1_S1_S0_i.num_named_barrier, max(0, .L_Z13ht_get_atomicP6loc_ht9cstr_typej.num_named_barrier)
	.set _Z22iterative_walks_kernelILi64EEvPjS0_PcS1_S1_S0_S0_PdP6loc_htS0_P11loc_ht_boolijS0_llliijS1_S1_S0_i.private_seg_size, 80+max(.L_Z13ht_get_atomicP6loc_ht9cstr_typej.private_seg_size)
	.set _Z22iterative_walks_kernelILi64EEvPjS0_PcS1_S1_S0_S0_PdP6loc_htS0_P11loc_ht_boolijS0_llliijS1_S1_S0_i.uses_vcc, or(1, .L_Z13ht_get_atomicP6loc_ht9cstr_typej.uses_vcc)
	.set _Z22iterative_walks_kernelILi64EEvPjS0_PcS1_S1_S0_S0_PdP6loc_htS0_P11loc_ht_boolijS0_llliijS1_S1_S0_i.uses_flat_scratch, or(1, .L_Z13ht_get_atomicP6loc_ht9cstr_typej.uses_flat_scratch)
	.set _Z22iterative_walks_kernelILi64EEvPjS0_PcS1_S1_S0_S0_PdP6loc_htS0_P11loc_ht_boolijS0_llliijS1_S1_S0_i.has_dyn_sized_stack, or(0, .L_Z13ht_get_atomicP6loc_ht9cstr_typej.has_dyn_sized_stack)
	.set _Z22iterative_walks_kernelILi64EEvPjS0_PcS1_S1_S0_S0_PdP6loc_htS0_P11loc_ht_boolijS0_llliijS1_S1_S0_i.has_recursion, or(0, .L_Z13ht_get_atomicP6loc_ht9cstr_typej.has_recursion)
	.set _Z22iterative_walks_kernelILi64EEvPjS0_PcS1_S1_S0_S0_PdP6loc_htS0_P11loc_ht_boolijS0_llliijS1_S1_S0_i.has_indirect_call, or(0, .L_Z13ht_get_atomicP6loc_ht9cstr_typej.has_indirect_call)
	.section	.AMDGPU.csdata,"",@progbits
; Kernel info:
; codeLenInByte = 24060
; TotalNumSgprs: 74
; NumVgprs: 109
; ScratchSize: 80
; MemoryBound: 0
; FloatMode: 240
; IeeeMode: 1
; LDSByteSize: 16384 bytes/workgroup (compile time only)
; SGPRBlocks: 0
; VGPRBlocks: 6
; NumSGPRsForWavesPerEU: 74
; NumVGPRsForWavesPerEU: 109
; NamedBarCnt: 0
; Occupancy: 9
; WaveLimiterHint : 1
; COMPUTE_PGM_RSRC2:SCRATCH_EN: 1
; COMPUTE_PGM_RSRC2:USER_SGPR: 4
; COMPUTE_PGM_RSRC2:TRAP_HANDLER: 0
; COMPUTE_PGM_RSRC2:TGID_X_EN: 1
; COMPUTE_PGM_RSRC2:TGID_Y_EN: 0
; COMPUTE_PGM_RSRC2:TGID_Z_EN: 0
; COMPUTE_PGM_RSRC2:TIDIG_COMP_CNT: 2
	.text
	.p2alignl 7, 3214868480
	.fill 96, 4, 3214868480
	.section	.AMDGPU.gpr_maximums,"",@progbits
	.set amdgpu.max_num_vgpr, 53
	.set amdgpu.max_num_agpr, 0
	.set amdgpu.max_num_sgpr, 32
	.text
	.type	.str.2,@object                  ; @.str.2
	.section	.rodata.str1.1,"aMS",@progbits,1
.str.2:
	.asciz	"*****end reached, hashtable full*****\n"
	.size	.str.2, 39

	.type	.str.3,@object                  ; @.str.3
.str.3:
	.asciz	"*********ASSERTION FAILURE IN COUNT_MERS****"
	.size	.str.3, 45

	.type	.str.4,@object                  ; @.str.4
.str.4:
	.asciz	"******* ASSERTION FAILED IN sort_merbase************"
	.size	.str.4, 53

	.type	__hip_cuid_5858bea84e912ca0,@object ; @__hip_cuid_5858bea84e912ca0
	.section	.bss,"aw",@nobits
	.globl	__hip_cuid_5858bea84e912ca0
__hip_cuid_5858bea84e912ca0:
	.byte	0                               ; 0x0
	.size	__hip_cuid_5858bea84e912ca0, 1

	.ident	"AMD clang version 22.0.0git (https://github.com/RadeonOpenCompute/llvm-project roc-7.2.4 26084 f58b06dce1f9c15707c5f808fd002e18c2accf7e)"
	.section	".note.GNU-stack","",@progbits
	.addrsig
	.addrsig_sym __hip_cuid_5858bea84e912ca0
	.amdgpu_metadata
---
amdhsa.kernels:
  - .args:
      - .address_space:  global
        .offset:         0
        .size:           8
        .value_kind:     global_buffer
      - .address_space:  global
        .offset:         8
        .size:           8
        .value_kind:     global_buffer
      - .address_space:  global
        .offset:         16
        .size:           8
        .value_kind:     global_buffer
      - .address_space:  global
        .offset:         24
        .size:           8
        .value_kind:     global_buffer
      - .address_space:  global
        .offset:         32
        .size:           8
        .value_kind:     global_buffer
      - .address_space:  global
        .offset:         40
        .size:           8
        .value_kind:     global_buffer
      - .address_space:  global
        .offset:         48
        .size:           8
        .value_kind:     global_buffer
      - .address_space:  global
        .offset:         56
        .size:           8
        .value_kind:     global_buffer
      - .address_space:  global
        .offset:         64
        .size:           8
        .value_kind:     global_buffer
      - .address_space:  global
        .offset:         72
        .size:           8
        .value_kind:     global_buffer
      - .address_space:  global
        .offset:         80
        .size:           8
        .value_kind:     global_buffer
      - .offset:         88
        .size:           4
        .value_kind:     by_value
      - .offset:         92
        .size:           4
        .value_kind:     by_value
      - .address_space:  global
        .offset:         96
        .size:           8
        .value_kind:     global_buffer
      - .offset:         104
        .size:           8
        .value_kind:     by_value
      - .offset:         112
        .size:           8
        .value_kind:     by_value
      - .offset:         120
        .size:           8
        .value_kind:     by_value
      - .offset:         128
        .size:           4
        .value_kind:     by_value
      - .offset:         132
        .size:           4
        .value_kind:     by_value
      - .offset:         136
        .size:           4
        .value_kind:     by_value
      - .address_space:  global
        .offset:         144
        .size:           8
        .value_kind:     global_buffer
      - .address_space:  global
        .offset:         152
        .size:           8
        .value_kind:     global_buffer
      - .address_space:  global
        .offset:         160
        .size:           8
        .value_kind:     global_buffer
      - .offset:         168
        .size:           4
        .value_kind:     by_value
      - .offset:         176
        .size:           4
        .value_kind:     hidden_block_count_x
      - .offset:         180
        .size:           4
        .value_kind:     hidden_block_count_y
      - .offset:         184
        .size:           4
        .value_kind:     hidden_block_count_z
      - .offset:         188
        .size:           2
        .value_kind:     hidden_group_size_x
      - .offset:         190
        .size:           2
        .value_kind:     hidden_group_size_y
      - .offset:         192
        .size:           2
        .value_kind:     hidden_group_size_z
      - .offset:         194
        .size:           2
        .value_kind:     hidden_remainder_x
      - .offset:         196
        .size:           2
        .value_kind:     hidden_remainder_y
      - .offset:         198
        .size:           2
        .value_kind:     hidden_remainder_z
      - .offset:         216
        .size:           8
        .value_kind:     hidden_global_offset_x
      - .offset:         224
        .size:           8
        .value_kind:     hidden_global_offset_y
      - .offset:         232
        .size:           8
        .value_kind:     hidden_global_offset_z
      - .offset:         240
        .size:           2
        .value_kind:     hidden_grid_dims
      - .offset:         256
        .size:           8
        .value_kind:     hidden_hostcall_buffer
    .group_segment_fixed_size: 16384
    .kernarg_segment_align: 8
    .kernarg_segment_size: 432
    .language:       OpenCL C
    .language_version:
      - 2
      - 0
    .max_flat_workgroup_size: 1024
    .name:           _Z22iterative_walks_kernelILi32EEvPjS0_PcS1_S1_S0_S0_PdP6loc_htS0_P11loc_ht_boolijS0_llliijS1_S1_S0_i
    .private_segment_fixed_size: 80
    .sgpr_count:     74
    .sgpr_spill_count: 0
    .symbol:         _Z22iterative_walks_kernelILi32EEvPjS0_PcS1_S1_S0_S0_PdP6loc_htS0_P11loc_ht_boolijS0_llliijS1_S1_S0_i.kd
    .uniform_work_group_size: 1
    .uses_dynamic_stack: false
    .vgpr_count:     109
    .vgpr_spill_count: 0
    .wavefront_size: 32
  - .args:
      - .address_space:  global
        .offset:         0
        .size:           8
        .value_kind:     global_buffer
      - .address_space:  global
        .offset:         8
        .size:           8
        .value_kind:     global_buffer
      - .address_space:  global
        .offset:         16
        .size:           8
        .value_kind:     global_buffer
      - .address_space:  global
        .offset:         24
        .size:           8
        .value_kind:     global_buffer
      - .address_space:  global
        .offset:         32
        .size:           8
        .value_kind:     global_buffer
      - .address_space:  global
        .offset:         40
        .size:           8
        .value_kind:     global_buffer
      - .address_space:  global
        .offset:         48
        .size:           8
        .value_kind:     global_buffer
      - .address_space:  global
        .offset:         56
        .size:           8
        .value_kind:     global_buffer
      - .address_space:  global
        .offset:         64
        .size:           8
        .value_kind:     global_buffer
      - .address_space:  global
        .offset:         72
        .size:           8
        .value_kind:     global_buffer
      - .address_space:  global
        .offset:         80
        .size:           8
        .value_kind:     global_buffer
      - .offset:         88
        .size:           4
        .value_kind:     by_value
      - .offset:         92
        .size:           4
        .value_kind:     by_value
      - .address_space:  global
        .offset:         96
        .size:           8
        .value_kind:     global_buffer
      - .offset:         104
        .size:           8
        .value_kind:     by_value
      - .offset:         112
        .size:           8
        .value_kind:     by_value
      - .offset:         120
        .size:           8
        .value_kind:     by_value
      - .offset:         128
        .size:           4
        .value_kind:     by_value
      - .offset:         132
        .size:           4
        .value_kind:     by_value
      - .offset:         136
        .size:           4
        .value_kind:     by_value
      - .address_space:  global
        .offset:         144
        .size:           8
        .value_kind:     global_buffer
      - .address_space:  global
        .offset:         152
        .size:           8
        .value_kind:     global_buffer
      - .address_space:  global
        .offset:         160
        .size:           8
        .value_kind:     global_buffer
      - .offset:         168
        .size:           4
        .value_kind:     by_value
      - .offset:         176
        .size:           4
        .value_kind:     hidden_block_count_x
      - .offset:         180
        .size:           4
        .value_kind:     hidden_block_count_y
      - .offset:         184
        .size:           4
        .value_kind:     hidden_block_count_z
      - .offset:         188
        .size:           2
        .value_kind:     hidden_group_size_x
      - .offset:         190
        .size:           2
        .value_kind:     hidden_group_size_y
      - .offset:         192
        .size:           2
        .value_kind:     hidden_group_size_z
      - .offset:         194
        .size:           2
        .value_kind:     hidden_remainder_x
      - .offset:         196
        .size:           2
        .value_kind:     hidden_remainder_y
      - .offset:         198
        .size:           2
        .value_kind:     hidden_remainder_z
      - .offset:         216
        .size:           8
        .value_kind:     hidden_global_offset_x
      - .offset:         224
        .size:           8
        .value_kind:     hidden_global_offset_y
      - .offset:         232
        .size:           8
        .value_kind:     hidden_global_offset_z
      - .offset:         240
        .size:           2
        .value_kind:     hidden_grid_dims
      - .offset:         256
        .size:           8
        .value_kind:     hidden_hostcall_buffer
    .group_segment_fixed_size: 16384
    .kernarg_segment_align: 8
    .kernarg_segment_size: 432
    .language:       OpenCL C
    .language_version:
      - 2
      - 0
    .max_flat_workgroup_size: 1024
    .name:           _Z22iterative_walks_kernelILi64EEvPjS0_PcS1_S1_S0_S0_PdP6loc_htS0_P11loc_ht_boolijS0_llliijS1_S1_S0_i
    .private_segment_fixed_size: 80
    .sgpr_count:     74
    .sgpr_spill_count: 0
    .symbol:         _Z22iterative_walks_kernelILi64EEvPjS0_PcS1_S1_S0_S0_PdP6loc_htS0_P11loc_ht_boolijS0_llliijS1_S1_S0_i.kd
    .uniform_work_group_size: 1
    .uses_dynamic_stack: false
    .vgpr_count:     109
    .vgpr_spill_count: 0
    .wavefront_size: 32
amdhsa.target:   amdgcn-amd-amdhsa--gfx1250
amdhsa.version:
  - 1
  - 2
...

	.end_amdgpu_metadata
